;; amdgpu-corpus repo=ROCm/rocFFT kind=compiled arch=gfx1201 opt=O3
	.text
	.amdgcn_target "amdgcn-amd-amdhsa--gfx1201"
	.amdhsa_code_object_version 6
	.protected	fft_rtc_back_len1200_factors_5_5_16_3_wgs_225_tpt_75_halfLds_half_ip_CI_unitstride_sbrr_C2R_dirReg ; -- Begin function fft_rtc_back_len1200_factors_5_5_16_3_wgs_225_tpt_75_halfLds_half_ip_CI_unitstride_sbrr_C2R_dirReg
	.globl	fft_rtc_back_len1200_factors_5_5_16_3_wgs_225_tpt_75_halfLds_half_ip_CI_unitstride_sbrr_C2R_dirReg
	.p2align	8
	.type	fft_rtc_back_len1200_factors_5_5_16_3_wgs_225_tpt_75_halfLds_half_ip_CI_unitstride_sbrr_C2R_dirReg,@function
fft_rtc_back_len1200_factors_5_5_16_3_wgs_225_tpt_75_halfLds_half_ip_CI_unitstride_sbrr_C2R_dirReg: ; @fft_rtc_back_len1200_factors_5_5_16_3_wgs_225_tpt_75_halfLds_half_ip_CI_unitstride_sbrr_C2R_dirReg
; %bb.0:
	s_load_b128 s[4:7], s[0:1], 0x0
	v_mul_u32_u24_e32 v1, 0x36a, v0
	s_clause 0x1
	s_load_b64 s[8:9], s[0:1], 0x50
	s_load_b64 s[10:11], s[0:1], 0x18
	v_mov_b32_e32 v5, 0
	v_lshrrev_b32_e32 v1, 16, v1
	s_delay_alu instid0(VALU_DEP_1) | instskip(SKIP_3) | instid1(VALU_DEP_1)
	v_mad_co_u64_u32 v[1:2], null, ttmp9, 3, v[1:2]
	v_mov_b32_e32 v3, 0
	v_mov_b32_e32 v4, 0
	;; [unrolled: 1-line block ×4, first 2 shown]
	s_wait_kmcnt 0x0
	v_cmp_lt_u64_e64 s2, s[6:7], 2
	v_mov_b32_e32 v9, v1
	s_delay_alu instid0(VALU_DEP_2)
	s_and_b32 vcc_lo, exec_lo, s2
	s_cbranch_vccnz .LBB0_8
; %bb.1:
	s_load_b64 s[2:3], s[0:1], 0x10
	v_dual_mov_b32 v3, 0 :: v_dual_mov_b32 v8, v2
	v_dual_mov_b32 v4, 0 :: v_dual_mov_b32 v7, v1
	s_add_nc_u64 s[12:13], s[10:11], 8
	s_mov_b64 s[14:15], 1
	s_wait_kmcnt 0x0
	s_add_nc_u64 s[16:17], s[2:3], 8
	s_mov_b32 s3, 0
.LBB0_2:                                ; =>This Inner Loop Header: Depth=1
	s_load_b64 s[18:19], s[16:17], 0x0
                                        ; implicit-def: $vgpr9_vgpr10
	s_mov_b32 s2, exec_lo
	s_wait_kmcnt 0x0
	v_or_b32_e32 v6, s19, v8
	s_delay_alu instid0(VALU_DEP_1)
	v_cmpx_ne_u64_e32 0, v[5:6]
	s_wait_alu 0xfffe
	s_xor_b32 s20, exec_lo, s2
	s_cbranch_execz .LBB0_4
; %bb.3:                                ;   in Loop: Header=BB0_2 Depth=1
	s_cvt_f32_u32 s2, s18
	s_cvt_f32_u32 s21, s19
	s_sub_nc_u64 s[24:25], 0, s[18:19]
	s_wait_alu 0xfffe
	s_delay_alu instid0(SALU_CYCLE_1) | instskip(SKIP_1) | instid1(SALU_CYCLE_2)
	s_fmamk_f32 s2, s21, 0x4f800000, s2
	s_wait_alu 0xfffe
	v_s_rcp_f32 s2, s2
	s_delay_alu instid0(TRANS32_DEP_1) | instskip(SKIP_1) | instid1(SALU_CYCLE_2)
	s_mul_f32 s2, s2, 0x5f7ffffc
	s_wait_alu 0xfffe
	s_mul_f32 s21, s2, 0x2f800000
	s_wait_alu 0xfffe
	s_delay_alu instid0(SALU_CYCLE_2) | instskip(SKIP_1) | instid1(SALU_CYCLE_2)
	s_trunc_f32 s21, s21
	s_wait_alu 0xfffe
	s_fmamk_f32 s2, s21, 0xcf800000, s2
	s_cvt_u32_f32 s23, s21
	s_wait_alu 0xfffe
	s_delay_alu instid0(SALU_CYCLE_1) | instskip(SKIP_1) | instid1(SALU_CYCLE_2)
	s_cvt_u32_f32 s22, s2
	s_wait_alu 0xfffe
	s_mul_u64 s[26:27], s[24:25], s[22:23]
	s_wait_alu 0xfffe
	s_mul_hi_u32 s29, s22, s27
	s_mul_i32 s28, s22, s27
	s_mul_hi_u32 s2, s22, s26
	s_mul_i32 s30, s23, s26
	s_wait_alu 0xfffe
	s_add_nc_u64 s[28:29], s[2:3], s[28:29]
	s_mul_hi_u32 s21, s23, s26
	s_mul_hi_u32 s31, s23, s27
	s_add_co_u32 s2, s28, s30
	s_wait_alu 0xfffe
	s_add_co_ci_u32 s2, s29, s21
	s_mul_i32 s26, s23, s27
	s_add_co_ci_u32 s27, s31, 0
	s_wait_alu 0xfffe
	s_add_nc_u64 s[26:27], s[2:3], s[26:27]
	s_wait_alu 0xfffe
	v_add_co_u32 v2, s2, s22, s26
	s_delay_alu instid0(VALU_DEP_1) | instskip(SKIP_1) | instid1(VALU_DEP_1)
	s_cmp_lg_u32 s2, 0
	s_add_co_ci_u32 s23, s23, s27
	v_readfirstlane_b32 s22, v2
	s_wait_alu 0xfffe
	s_delay_alu instid0(VALU_DEP_1)
	s_mul_u64 s[24:25], s[24:25], s[22:23]
	s_wait_alu 0xfffe
	s_mul_hi_u32 s27, s22, s25
	s_mul_i32 s26, s22, s25
	s_mul_hi_u32 s2, s22, s24
	s_mul_i32 s28, s23, s24
	s_wait_alu 0xfffe
	s_add_nc_u64 s[26:27], s[2:3], s[26:27]
	s_mul_hi_u32 s21, s23, s24
	s_mul_hi_u32 s22, s23, s25
	s_wait_alu 0xfffe
	s_add_co_u32 s2, s26, s28
	s_add_co_ci_u32 s2, s27, s21
	s_mul_i32 s24, s23, s25
	s_add_co_ci_u32 s25, s22, 0
	s_wait_alu 0xfffe
	s_add_nc_u64 s[24:25], s[2:3], s[24:25]
	s_wait_alu 0xfffe
	v_add_co_u32 v2, s2, v2, s24
	s_delay_alu instid0(VALU_DEP_1) | instskip(SKIP_1) | instid1(VALU_DEP_1)
	s_cmp_lg_u32 s2, 0
	s_add_co_ci_u32 s2, s23, s25
	v_mul_hi_u32 v6, v7, v2
	s_wait_alu 0xfffe
	v_mad_co_u64_u32 v[9:10], null, v7, s2, 0
	v_mad_co_u64_u32 v[11:12], null, v8, v2, 0
	;; [unrolled: 1-line block ×3, first 2 shown]
	s_delay_alu instid0(VALU_DEP_3) | instskip(SKIP_1) | instid1(VALU_DEP_4)
	v_add_co_u32 v2, vcc_lo, v6, v9
	s_wait_alu 0xfffd
	v_add_co_ci_u32_e32 v6, vcc_lo, 0, v10, vcc_lo
	s_delay_alu instid0(VALU_DEP_2) | instskip(SKIP_1) | instid1(VALU_DEP_2)
	v_add_co_u32 v2, vcc_lo, v2, v11
	s_wait_alu 0xfffd
	v_add_co_ci_u32_e32 v2, vcc_lo, v6, v12, vcc_lo
	s_wait_alu 0xfffd
	v_add_co_ci_u32_e32 v6, vcc_lo, 0, v14, vcc_lo
	s_delay_alu instid0(VALU_DEP_2) | instskip(SKIP_1) | instid1(VALU_DEP_2)
	v_add_co_u32 v2, vcc_lo, v2, v13
	s_wait_alu 0xfffd
	v_add_co_ci_u32_e32 v6, vcc_lo, 0, v6, vcc_lo
	s_delay_alu instid0(VALU_DEP_2) | instskip(SKIP_1) | instid1(VALU_DEP_3)
	v_mul_lo_u32 v11, s19, v2
	v_mad_co_u64_u32 v[9:10], null, s18, v2, 0
	v_mul_lo_u32 v12, s18, v6
	s_delay_alu instid0(VALU_DEP_2) | instskip(NEXT) | instid1(VALU_DEP_2)
	v_sub_co_u32 v9, vcc_lo, v7, v9
	v_add3_u32 v10, v10, v12, v11
	s_delay_alu instid0(VALU_DEP_1) | instskip(SKIP_1) | instid1(VALU_DEP_1)
	v_sub_nc_u32_e32 v11, v8, v10
	s_wait_alu 0xfffd
	v_subrev_co_ci_u32_e64 v11, s2, s19, v11, vcc_lo
	v_add_co_u32 v12, s2, v2, 2
	s_wait_alu 0xf1ff
	v_add_co_ci_u32_e64 v13, s2, 0, v6, s2
	v_sub_co_u32 v14, s2, v9, s18
	v_sub_co_ci_u32_e32 v10, vcc_lo, v8, v10, vcc_lo
	s_wait_alu 0xf1ff
	v_subrev_co_ci_u32_e64 v11, s2, 0, v11, s2
	s_delay_alu instid0(VALU_DEP_3) | instskip(NEXT) | instid1(VALU_DEP_3)
	v_cmp_le_u32_e32 vcc_lo, s18, v14
	v_cmp_eq_u32_e64 s2, s19, v10
	s_wait_alu 0xfffd
	v_cndmask_b32_e64 v14, 0, -1, vcc_lo
	v_cmp_le_u32_e32 vcc_lo, s19, v11
	s_wait_alu 0xfffd
	v_cndmask_b32_e64 v15, 0, -1, vcc_lo
	v_cmp_le_u32_e32 vcc_lo, s18, v9
	;; [unrolled: 3-line block ×3, first 2 shown]
	s_wait_alu 0xfffd
	v_cndmask_b32_e64 v16, 0, -1, vcc_lo
	v_cmp_eq_u32_e32 vcc_lo, s19, v11
	s_wait_alu 0xf1ff
	s_delay_alu instid0(VALU_DEP_2)
	v_cndmask_b32_e64 v9, v16, v9, s2
	s_wait_alu 0xfffd
	v_cndmask_b32_e32 v11, v15, v14, vcc_lo
	v_add_co_u32 v14, vcc_lo, v2, 1
	s_wait_alu 0xfffd
	v_add_co_ci_u32_e32 v15, vcc_lo, 0, v6, vcc_lo
	s_delay_alu instid0(VALU_DEP_3) | instskip(SKIP_1) | instid1(VALU_DEP_2)
	v_cmp_ne_u32_e32 vcc_lo, 0, v11
	s_wait_alu 0xfffd
	v_dual_cndmask_b32 v10, v15, v13 :: v_dual_cndmask_b32 v11, v14, v12
	v_cmp_ne_u32_e32 vcc_lo, 0, v9
	s_wait_alu 0xfffd
	s_delay_alu instid0(VALU_DEP_2) | instskip(NEXT) | instid1(VALU_DEP_3)
	v_cndmask_b32_e32 v10, v6, v10, vcc_lo
	v_cndmask_b32_e32 v9, v2, v11, vcc_lo
.LBB0_4:                                ;   in Loop: Header=BB0_2 Depth=1
	s_wait_alu 0xfffe
	s_and_not1_saveexec_b32 s2, s20
	s_cbranch_execz .LBB0_6
; %bb.5:                                ;   in Loop: Header=BB0_2 Depth=1
	v_cvt_f32_u32_e32 v2, s18
	s_sub_co_i32 s20, 0, s18
	s_delay_alu instid0(VALU_DEP_1) | instskip(NEXT) | instid1(TRANS32_DEP_1)
	v_rcp_iflag_f32_e32 v2, v2
	v_mul_f32_e32 v2, 0x4f7ffffe, v2
	s_delay_alu instid0(VALU_DEP_1) | instskip(SKIP_1) | instid1(VALU_DEP_1)
	v_cvt_u32_f32_e32 v2, v2
	s_wait_alu 0xfffe
	v_mul_lo_u32 v6, s20, v2
	s_delay_alu instid0(VALU_DEP_1) | instskip(NEXT) | instid1(VALU_DEP_1)
	v_mul_hi_u32 v6, v2, v6
	v_add_nc_u32_e32 v2, v2, v6
	s_delay_alu instid0(VALU_DEP_1) | instskip(NEXT) | instid1(VALU_DEP_1)
	v_mul_hi_u32 v2, v7, v2
	v_mul_lo_u32 v6, v2, s18
	v_add_nc_u32_e32 v9, 1, v2
	s_delay_alu instid0(VALU_DEP_2) | instskip(NEXT) | instid1(VALU_DEP_1)
	v_sub_nc_u32_e32 v6, v7, v6
	v_subrev_nc_u32_e32 v10, s18, v6
	v_cmp_le_u32_e32 vcc_lo, s18, v6
	s_wait_alu 0xfffd
	s_delay_alu instid0(VALU_DEP_2) | instskip(SKIP_2) | instid1(VALU_DEP_3)
	v_cndmask_b32_e32 v6, v6, v10, vcc_lo
	v_mov_b32_e32 v10, v5
	v_cndmask_b32_e32 v2, v2, v9, vcc_lo
	v_cmp_le_u32_e32 vcc_lo, s18, v6
	s_delay_alu instid0(VALU_DEP_2) | instskip(SKIP_1) | instid1(VALU_DEP_1)
	v_add_nc_u32_e32 v9, 1, v2
	s_wait_alu 0xfffd
	v_cndmask_b32_e32 v9, v2, v9, vcc_lo
.LBB0_6:                                ;   in Loop: Header=BB0_2 Depth=1
	s_wait_alu 0xfffe
	s_or_b32 exec_lo, exec_lo, s2
	s_load_b64 s[20:21], s[12:13], 0x0
	v_mul_lo_u32 v2, v10, s18
	v_mul_lo_u32 v6, v9, s19
	v_mad_co_u64_u32 v[11:12], null, v9, s18, 0
	s_add_nc_u64 s[14:15], s[14:15], 1
	s_add_nc_u64 s[12:13], s[12:13], 8
	s_wait_alu 0xfffe
	v_cmp_ge_u64_e64 s2, s[14:15], s[6:7]
	s_add_nc_u64 s[16:17], s[16:17], 8
	s_delay_alu instid0(VALU_DEP_2) | instskip(NEXT) | instid1(VALU_DEP_3)
	v_add3_u32 v2, v12, v6, v2
	v_sub_co_u32 v6, vcc_lo, v7, v11
	s_wait_alu 0xfffd
	s_delay_alu instid0(VALU_DEP_2) | instskip(SKIP_3) | instid1(VALU_DEP_2)
	v_sub_co_ci_u32_e32 v2, vcc_lo, v8, v2, vcc_lo
	s_and_b32 vcc_lo, exec_lo, s2
	s_wait_kmcnt 0x0
	v_mul_lo_u32 v7, s21, v6
	v_mul_lo_u32 v2, s20, v2
	v_mad_co_u64_u32 v[3:4], null, s20, v6, v[3:4]
	s_delay_alu instid0(VALU_DEP_1)
	v_add3_u32 v4, v7, v4, v2
	s_wait_alu 0xfffe
	s_cbranch_vccnz .LBB0_8
; %bb.7:                                ;   in Loop: Header=BB0_2 Depth=1
	v_dual_mov_b32 v7, v9 :: v_dual_mov_b32 v8, v10
	s_branch .LBB0_2
.LBB0_8:
	s_lshl_b64 s[2:3], s[6:7], 3
	v_mul_hi_u32 v2, 0xaaaaaaab, v1
	s_wait_alu 0xfffe
	s_add_nc_u64 s[2:3], s[10:11], s[2:3]
	s_load_b64 s[0:1], s[0:1], 0x20
	s_load_b64 s[2:3], s[2:3], 0x0
	v_mul_hi_u32 v5, 0x369d037, v0
	s_delay_alu instid0(VALU_DEP_2) | instskip(NEXT) | instid1(VALU_DEP_1)
	v_lshrrev_b32_e32 v2, 1, v2
	v_lshl_add_u32 v6, v2, 1, v2
	s_delay_alu instid0(VALU_DEP_1)
	v_sub_nc_u32_e32 v1, v1, v6
	s_wait_kmcnt 0x0
	v_cmp_gt_u64_e32 vcc_lo, s[0:1], v[9:10]
	v_mul_lo_u32 v7, s2, v10
	v_mul_lo_u32 v8, s3, v9
	v_mad_co_u64_u32 v[2:3], null, s2, v9, v[3:4]
	v_mul_u32_u24_e32 v4, 0x4b, v5
	v_mul_u32_u24_e32 v23, 0x4b1, v1
	s_delay_alu instid0(VALU_DEP_2) | instskip(NEXT) | instid1(VALU_DEP_4)
	v_sub_nc_u32_e32 v0, v0, v4
	v_add3_u32 v3, v8, v3, v7
	s_delay_alu instid0(VALU_DEP_3) | instskip(NEXT) | instid1(VALU_DEP_2)
	v_lshlrev_b32_e32 v25, 2, v23
	v_lshlrev_b64_e32 v[2:3], 2, v[2:3]
	s_and_saveexec_b32 s1, vcc_lo
	s_cbranch_execz .LBB0_12
; %bb.9:
	v_mov_b32_e32 v1, 0
	s_delay_alu instid0(VALU_DEP_2) | instskip(SKIP_2) | instid1(VALU_DEP_3)
	v_add_co_u32 v4, s0, s8, v2
	s_wait_alu 0xf1ff
	v_add_co_ci_u32_e64 v5, s0, s9, v3, s0
	v_lshlrev_b64_e32 v[6:7], 2, v[0:1]
	v_lshlrev_b32_e32 v1, 2, v0
	s_mov_b32 s2, exec_lo
	s_delay_alu instid0(VALU_DEP_1) | instskip(NEXT) | instid1(VALU_DEP_3)
	v_add3_u32 v1, 0, v25, v1
	v_add_co_u32 v6, s0, v4, v6
	s_wait_alu 0xf1ff
	v_add_co_ci_u32_e64 v7, s0, v5, v7, s0
	s_delay_alu instid0(VALU_DEP_3)
	v_add_nc_u32_e32 v24, 0x600, v1
	v_add_nc_u32_e32 v26, 0x800, v1
	s_clause 0xf
	global_load_b32 v8, v[6:7], off
	global_load_b32 v9, v[6:7], off offset:300
	global_load_b32 v10, v[6:7], off offset:600
	;; [unrolled: 1-line block ×15, first 2 shown]
	v_add_nc_u32_e32 v7, 0x400, v1
	v_add_nc_u32_e32 v27, 0xa00, v1
	v_add_nc_u32_e32 v28, 0xc00, v1
	v_add_nc_u32_e32 v29, 0x1000, v1
	s_wait_loadcnt 0xe
	ds_store_2addr_b32 v1, v8, v9 offset1:75
	s_wait_loadcnt 0xc
	ds_store_2addr_b32 v1, v10, v11 offset0:150 offset1:225
	s_wait_loadcnt 0xa
	ds_store_2addr_b32 v7, v12, v13 offset0:44 offset1:119
	;; [unrolled: 2-line block ×7, first 2 shown]
	v_cmpx_eq_u32_e32 0x4a, v0
	s_cbranch_execz .LBB0_11
; %bb.10:
	global_load_b32 v4, v[4:5], off offset:4800
	v_mov_b32_e32 v0, 0x4a
	s_wait_loadcnt 0x0
	ds_store_b32 v1, v4 offset:4504
.LBB0_11:
	s_wait_alu 0xfffe
	s_or_b32 exec_lo, exec_lo, s2
.LBB0_12:
	s_wait_alu 0xfffe
	s_or_b32 exec_lo, exec_lo, s1
	v_lshl_add_u32 v22, v23, 2, 0
	v_lshlrev_b32_e32 v1, 2, v0
	global_wb scope:SCOPE_SE
	s_wait_dscnt 0x0
	s_barrier_signal -1
	s_barrier_wait -1
	global_inv scope:SCOPE_SE
	v_add_nc_u32_e32 v24, v22, v1
	v_sub_nc_u32_e32 v6, v22, v1
	s_mov_b32 s1, exec_lo
                                        ; implicit-def: $vgpr4_vgpr5
	ds_load_u16 v9, v24
	ds_load_u16 v10, v6 offset:4800
	s_wait_dscnt 0x0
	v_add_f16_e32 v8, v10, v9
	v_sub_f16_e32 v7, v9, v10
	v_cmpx_ne_u32_e32 0, v0
	s_wait_alu 0xfffe
	s_xor_b32 s1, exec_lo, s1
	s_cbranch_execz .LBB0_14
; %bb.13:
	v_mov_b32_e32 v1, 0
	v_add_f16_e32 v8, v10, v9
	v_sub_f16_e32 v9, v9, v10
	s_delay_alu instid0(VALU_DEP_3) | instskip(NEXT) | instid1(VALU_DEP_1)
	v_lshlrev_b64_e32 v[4:5], 2, v[0:1]
	v_add_co_u32 v4, s0, s4, v4
	s_wait_alu 0xf1ff
	s_delay_alu instid0(VALU_DEP_2)
	v_add_co_ci_u32_e64 v5, s0, s5, v5, s0
	global_load_b32 v4, v[4:5], off offset:4780
	ds_load_u16 v5, v6 offset:4802
	ds_load_u16 v7, v24 offset:2
	s_wait_dscnt 0x0
	v_add_f16_e32 v10, v5, v7
	v_sub_f16_e32 v5, v7, v5
	s_wait_loadcnt 0x0
	v_lshrrev_b32_e32 v11, 16, v4
	s_delay_alu instid0(VALU_DEP_1) | instskip(NEXT) | instid1(VALU_DEP_3)
	v_fma_f16 v12, -v9, v11, v8
	v_fma_f16 v13, v10, v11, -v5
	v_fma_f16 v7, v10, v11, v5
	v_fma_f16 v8, v9, v11, v8
	s_delay_alu instid0(VALU_DEP_4) | instskip(NEXT) | instid1(VALU_DEP_4)
	v_fmac_f16_e32 v12, v4, v10
	v_fmac_f16_e32 v13, v9, v4
	s_delay_alu instid0(VALU_DEP_4) | instskip(NEXT) | instid1(VALU_DEP_4)
	v_fmac_f16_e32 v7, v9, v4
	v_fma_f16 v8, -v4, v10, v8
	v_dual_mov_b32 v5, v1 :: v_dual_mov_b32 v4, v0
	s_delay_alu instid0(VALU_DEP_4)
	v_pack_b32_f16 v9, v12, v13
	ds_store_b32 v6, v9 offset:4800
.LBB0_14:
	s_wait_alu 0xfffe
	s_and_not1_saveexec_b32 s0, s1
	s_cbranch_execz .LBB0_16
; %bb.15:
	ds_load_b32 v1, v22 offset:2400
	v_mov_b32_e32 v4, 0
	v_mov_b32_e32 v5, 0
	s_wait_dscnt 0x0
	v_pk_mul_f16 v1, 0xc0004000, v1
	ds_store_b32 v22, v1 offset:2400
.LBB0_16:
	s_wait_alu 0xfffe
	s_or_b32 exec_lo, exec_lo, s0
	v_lshlrev_b64_e32 v[4:5], 2, v[4:5]
	s_add_nc_u64 s[0:1], s[4:5], 0x12ac
	v_perm_b32 v7, v7, v8, 0x5040100
	v_lshl_add_u32 v26, v0, 2, 0
	s_wait_alu 0xfffe
	s_delay_alu instid0(VALU_DEP_3)
	v_add_co_u32 v4, s0, s0, v4
	s_wait_alu 0xf1ff
	v_add_co_ci_u32_e64 v5, s0, s1, v5, s0
	v_cmp_gt_u32_e64 s0, 15, v0
	s_clause 0x6
	global_load_b32 v1, v[4:5], off offset:300
	global_load_b32 v9, v[4:5], off offset:600
	;; [unrolled: 1-line block ×7, first 2 shown]
	ds_store_b32 v24, v7
	ds_load_b32 v5, v24 offset:300
	ds_load_b32 v7, v6 offset:4500
	s_wait_dscnt 0x1
	v_lshrrev_b32_e32 v8, 16, v5
	s_wait_dscnt 0x0
	v_lshrrev_b32_e32 v14, 16, v7
	v_add_f16_e32 v15, v5, v7
	v_sub_f16_e32 v5, v5, v7
	s_delay_alu instid0(VALU_DEP_3) | instskip(SKIP_3) | instid1(VALU_DEP_1)
	v_add_f16_e32 v7, v14, v8
	v_sub_f16_e32 v8, v8, v14
	s_wait_loadcnt 0x6
	v_lshrrev_b32_e32 v16, 16, v1
	v_fma_f16 v14, v5, v16, v15
	s_delay_alu instid0(VALU_DEP_3) | instskip(SKIP_2) | instid1(VALU_DEP_4)
	v_fma_f16 v17, v7, v16, v8
	v_fma_f16 v15, -v5, v16, v15
	v_fma_f16 v8, v7, v16, -v8
	v_fma_f16 v14, -v1, v7, v14
	s_delay_alu instid0(VALU_DEP_4) | instskip(NEXT) | instid1(VALU_DEP_4)
	v_fmac_f16_e32 v17, v5, v1
	v_fmac_f16_e32 v15, v1, v7
	s_delay_alu instid0(VALU_DEP_4) | instskip(NEXT) | instid1(VALU_DEP_3)
	v_fmac_f16_e32 v8, v5, v1
	v_pack_b32_f16 v1, v14, v17
	s_wait_loadcnt 0x5
	v_lshrrev_b32_e32 v14, 16, v9
	s_delay_alu instid0(VALU_DEP_3)
	v_pack_b32_f16 v5, v15, v8
	ds_store_b32 v24, v1 offset:300
	ds_store_b32 v6, v5 offset:4500
	ds_load_b32 v1, v24 offset:600
	ds_load_b32 v5, v6 offset:4200
	s_wait_dscnt 0x1
	v_lshrrev_b32_e32 v7, 16, v1
	s_wait_dscnt 0x0
	v_lshrrev_b32_e32 v8, 16, v5
	v_add_f16_e32 v15, v1, v5
	v_sub_f16_e32 v1, v1, v5
	s_delay_alu instid0(VALU_DEP_3) | instskip(SKIP_1) | instid1(VALU_DEP_3)
	v_add_f16_e32 v5, v8, v7
	v_sub_f16_e32 v7, v7, v8
	v_fma_f16 v8, v1, v14, v15
	v_fma_f16 v15, -v1, v14, v15
	s_delay_alu instid0(VALU_DEP_3) | instskip(SKIP_1) | instid1(VALU_DEP_4)
	v_fma_f16 v16, v5, v14, v7
	v_fma_f16 v7, v5, v14, -v7
	v_fma_f16 v8, -v9, v5, v8
	s_delay_alu instid0(VALU_DEP_4) | instskip(NEXT) | instid1(VALU_DEP_4)
	v_fmac_f16_e32 v15, v9, v5
	v_fmac_f16_e32 v16, v1, v9
	s_delay_alu instid0(VALU_DEP_4) | instskip(SKIP_2) | instid1(VALU_DEP_3)
	v_fmac_f16_e32 v7, v1, v9
	s_wait_loadcnt 0x4
	v_lshrrev_b32_e32 v9, 16, v10
	v_pack_b32_f16 v1, v8, v16
	s_delay_alu instid0(VALU_DEP_3)
	v_pack_b32_f16 v5, v15, v7
	ds_store_b32 v24, v1 offset:600
	ds_store_b32 v6, v5 offset:4200
	ds_load_b32 v1, v24 offset:900
	ds_load_b32 v5, v6 offset:3900
	s_wait_dscnt 0x1
	v_lshrrev_b32_e32 v7, 16, v1
	s_wait_dscnt 0x0
	v_lshrrev_b32_e32 v8, 16, v5
	v_add_f16_e32 v14, v1, v5
	v_sub_f16_e32 v1, v1, v5
	s_delay_alu instid0(VALU_DEP_3) | instskip(SKIP_1) | instid1(VALU_DEP_3)
	v_add_f16_e32 v5, v8, v7
	v_sub_f16_e32 v7, v7, v8
	v_fma_f16 v8, v1, v9, v14
	v_fma_f16 v14, -v1, v9, v14
	s_delay_alu instid0(VALU_DEP_3) | instskip(SKIP_1) | instid1(VALU_DEP_4)
	v_fma_f16 v15, v5, v9, v7
	v_fma_f16 v7, v5, v9, -v7
	v_fma_f16 v8, -v10, v5, v8
	s_delay_alu instid0(VALU_DEP_4) | instskip(SKIP_4) | instid1(VALU_DEP_2)
	v_fmac_f16_e32 v14, v10, v5
	s_wait_loadcnt 0x3
	v_lshrrev_b32_e32 v9, 16, v11
	v_fmac_f16_e32 v15, v1, v10
	v_fmac_f16_e32 v7, v1, v10
	v_pack_b32_f16 v1, v8, v15
	s_delay_alu instid0(VALU_DEP_2)
	v_pack_b32_f16 v5, v14, v7
	ds_store_b32 v24, v1 offset:900
	ds_store_b32 v6, v5 offset:3900
	ds_load_b32 v1, v24 offset:1200
	ds_load_b32 v5, v6 offset:3600
	s_wait_dscnt 0x1
	v_lshrrev_b32_e32 v7, 16, v1
	s_wait_dscnt 0x0
	v_lshrrev_b32_e32 v8, 16, v5
	v_add_f16_e32 v10, v1, v5
	v_sub_f16_e32 v1, v1, v5
	s_delay_alu instid0(VALU_DEP_3) | instskip(SKIP_1) | instid1(VALU_DEP_3)
	v_add_f16_e32 v5, v8, v7
	v_sub_f16_e32 v7, v7, v8
	v_fma_f16 v8, v1, v9, v10
	v_fma_f16 v10, -v1, v9, v10
	s_delay_alu instid0(VALU_DEP_3) | instskip(SKIP_1) | instid1(VALU_DEP_4)
	v_fma_f16 v14, v5, v9, v7
	v_fma_f16 v7, v5, v9, -v7
	v_fma_f16 v8, -v11, v5, v8
	s_delay_alu instid0(VALU_DEP_4) | instskip(SKIP_4) | instid1(VALU_DEP_2)
	v_fmac_f16_e32 v10, v11, v5
	s_wait_loadcnt 0x2
	v_lshrrev_b32_e32 v9, 16, v12
	v_fmac_f16_e32 v14, v1, v11
	v_fmac_f16_e32 v7, v1, v11
	v_pack_b32_f16 v1, v8, v14
	s_delay_alu instid0(VALU_DEP_2)
	v_pack_b32_f16 v5, v10, v7
	ds_store_b32 v24, v1 offset:1200
	ds_store_b32 v6, v5 offset:3600
	ds_load_b32 v1, v24 offset:1500
	ds_load_b32 v5, v6 offset:3300
	s_wait_dscnt 0x1
	v_lshrrev_b32_e32 v7, 16, v1
	s_wait_dscnt 0x0
	v_lshrrev_b32_e32 v8, 16, v5
	v_add_f16_e32 v10, v1, v5
	v_sub_f16_e32 v1, v1, v5
	s_delay_alu instid0(VALU_DEP_3) | instskip(SKIP_1) | instid1(VALU_DEP_3)
	v_add_f16_e32 v5, v8, v7
	v_sub_f16_e32 v7, v7, v8
	v_fma_f16 v8, v1, v9, v10
	v_fma_f16 v10, -v1, v9, v10
	s_delay_alu instid0(VALU_DEP_3) | instskip(SKIP_1) | instid1(VALU_DEP_4)
	v_fma_f16 v11, v5, v9, v7
	v_fma_f16 v7, v5, v9, -v7
	v_fma_f16 v8, -v12, v5, v8
	s_delay_alu instid0(VALU_DEP_4)
	v_fmac_f16_e32 v10, v12, v5
	s_wait_loadcnt 0x1
	v_lshrrev_b32_e32 v9, 16, v13
	v_fmac_f16_e32 v11, v1, v12
	v_fmac_f16_e32 v7, v1, v12
	v_mad_u32_u24 v12, v0, 20, 0
	s_delay_alu instid0(VALU_DEP_3) | instskip(NEXT) | instid1(VALU_DEP_3)
	v_pack_b32_f16 v1, v8, v11
	v_pack_b32_f16 v5, v10, v7
	ds_store_b32 v24, v1 offset:1500
	ds_store_b32 v6, v5 offset:3300
	ds_load_b32 v1, v24 offset:1800
	ds_load_b32 v5, v6 offset:3000
	v_add_nc_u32_e32 v21, v12, v25
	s_delay_alu instid0(VALU_DEP_1)
	v_add_nc_u32_e32 v35, 0x5e4, v21
	s_wait_dscnt 0x1
	v_lshrrev_b32_e32 v7, 16, v1
	s_wait_dscnt 0x0
	v_lshrrev_b32_e32 v8, 16, v5
	v_add_f16_e32 v10, v1, v5
	v_sub_f16_e32 v1, v1, v5
	s_delay_alu instid0(VALU_DEP_3) | instskip(SKIP_1) | instid1(VALU_DEP_3)
	v_add_f16_e32 v5, v8, v7
	v_sub_f16_e32 v7, v7, v8
	v_fma_f16 v8, v1, v9, v10
	v_fma_f16 v10, -v1, v9, v10
	s_delay_alu instid0(VALU_DEP_3) | instskip(SKIP_1) | instid1(VALU_DEP_4)
	v_fma_f16 v11, v5, v9, v7
	v_fma_f16 v7, v5, v9, -v7
	v_fma_f16 v8, -v13, v5, v8
	s_delay_alu instid0(VALU_DEP_4) | instskip(SKIP_4) | instid1(VALU_DEP_2)
	v_fmac_f16_e32 v10, v13, v5
	s_wait_loadcnt 0x0
	v_lshrrev_b32_e32 v9, 16, v4
	v_fmac_f16_e32 v11, v1, v13
	v_fmac_f16_e32 v7, v1, v13
	v_pack_b32_f16 v1, v8, v11
	s_delay_alu instid0(VALU_DEP_2)
	v_pack_b32_f16 v5, v10, v7
	ds_store_b32 v24, v1 offset:1800
	ds_store_b32 v6, v5 offset:3000
	ds_load_b32 v1, v24 offset:2100
	ds_load_b32 v5, v6 offset:2700
	s_wait_dscnt 0x1
	v_lshrrev_b32_e32 v7, 16, v1
	s_wait_dscnt 0x0
	v_lshrrev_b32_e32 v8, 16, v5
	v_add_f16_e32 v10, v1, v5
	v_sub_f16_e32 v1, v1, v5
	s_delay_alu instid0(VALU_DEP_3) | instskip(SKIP_1) | instid1(VALU_DEP_3)
	v_add_f16_e32 v5, v8, v7
	v_sub_f16_e32 v7, v7, v8
	v_fma_f16 v8, v1, v9, v10
	v_fma_f16 v10, -v1, v9, v10
	s_delay_alu instid0(VALU_DEP_3) | instskip(SKIP_1) | instid1(VALU_DEP_4)
	v_fma_f16 v11, v5, v9, v7
	v_fma_f16 v7, v5, v9, -v7
	v_fma_f16 v8, -v4, v5, v8
	s_delay_alu instid0(VALU_DEP_4) | instskip(NEXT) | instid1(VALU_DEP_4)
	v_fmac_f16_e32 v10, v4, v5
	v_fmac_f16_e32 v11, v1, v4
	s_delay_alu instid0(VALU_DEP_4) | instskip(SKIP_1) | instid1(VALU_DEP_3)
	v_fmac_f16_e32 v7, v1, v4
	v_add_nc_u32_e32 v1, v26, v25
	v_pack_b32_f16 v4, v8, v11
	s_delay_alu instid0(VALU_DEP_3) | instskip(NEXT) | instid1(VALU_DEP_3)
	v_pack_b32_f16 v5, v10, v7
	v_add_nc_u32_e32 v7, 0x400, v1
	v_add_nc_u32_e32 v9, 0x800, v1
	;; [unrolled: 1-line block ×3, first 2 shown]
	ds_store_b32 v24, v4 offset:2100
	ds_store_b32 v6, v5 offset:2700
	global_wb scope:SCOPE_SE
	s_wait_dscnt 0x0
	s_barrier_signal -1
	s_barrier_wait -1
	global_inv scope:SCOPE_SE
	global_wb scope:SCOPE_SE
	s_barrier_signal -1
	s_barrier_wait -1
	global_inv scope:SCOPE_SE
	ds_load_2addr_b32 v[4:5], v1 offset0:225 offset1:240
	ds_load_2addr_b32 v[13:14], v7 offset0:209 offset1:224
	;; [unrolled: 1-line block ×3, first 2 shown]
	ds_load_b32 v8, v1 offset:4740
	ds_load_2addr_b32 v[17:18], v10 offset0:177 offset1:192
	ds_load_b32 v36, v24
	v_add_nc_u32_e32 v6, 0xbb8, v12
	v_add_nc_u32_e32 v12, 0x1000, v1
	ds_load_2addr_b32 v[19:20], v1 offset0:75 offset1:150
	ds_load_2addr_b32 v[27:28], v7 offset0:59 offset1:134
	ds_load_2addr_b32 v[29:30], v9 offset0:43 offset1:118
	ds_load_2addr_b32 v[31:32], v10 offset0:27 offset1:102
	ds_load_2addr_b32 v[33:34], v12 offset0:11 offset1:86
	v_add_nc_u32_e32 v11, 0x5dc, v21
	global_wb scope:SCOPE_SE
	s_wait_dscnt 0x0
	v_add_nc_u32_e32 v38, v6, v25
	s_barrier_signal -1
	s_barrier_wait -1
	global_inv scope:SCOPE_SE
	v_pk_add_f16 v37, v4, v13
	v_pk_add_f16 v42, v15, v13 neg_lo:[0,1] neg_hi:[0,1]
	v_pk_add_f16 v39, v13, v8 neg_lo:[0,1] neg_hi:[0,1]
	;; [unrolled: 1-line block ×3, first 2 shown]
	v_pk_add_f16 v41, v13, v8
	v_pk_add_f16 v43, v17, v8 neg_lo:[0,1] neg_hi:[0,1]
	v_pk_add_f16 v44, v15, v17
	v_pk_add_f16 v46, v36, v5
	;; [unrolled: 1-line block ×3, first 2 shown]
	v_pk_add_f16 v48, v5, v18 neg_lo:[0,1] neg_hi:[0,1]
	v_pk_add_f16 v49, v14, v16 neg_lo:[0,1] neg_hi:[0,1]
	;; [unrolled: 1-line block ×3, first 2 shown]
	v_pk_add_f16 v52, v5, v18
	v_pk_add_f16 v5, v14, v5 neg_lo:[0,1] neg_hi:[0,1]
	v_pk_add_f16 v53, v16, v18 neg_lo:[0,1] neg_hi:[0,1]
	;; [unrolled: 1-line block ×5, first 2 shown]
	v_pk_add_f16 v54, v19, v27
	v_pk_add_f16 v55, v29, v31
	v_pk_add_f16 v56, v27, v33 neg_lo:[0,1] neg_hi:[0,1]
	v_pk_add_f16 v57, v29, v31 neg_lo:[0,1] neg_hi:[0,1]
	v_pk_add_f16 v60, v27, v33
	v_pk_add_f16 v58, v27, v29 neg_lo:[0,1] neg_hi:[0,1]
	v_pk_add_f16 v59, v33, v31 neg_lo:[0,1] neg_hi:[0,1]
	v_pk_add_f16 v62, v20, v28
	v_pk_add_f16 v63, v30, v32
	v_pk_add_f16 v64, v28, v34 neg_lo:[0,1] neg_hi:[0,1]
	v_pk_add_f16 v65, v30, v32 neg_lo:[0,1] neg_hi:[0,1]
	v_pk_add_f16 v68, v28, v34
	v_pk_add_f16 v15, v37, v15
	v_pk_fma_f16 v37, v41, 0.5, v4 op_sel_hi:[1,0,1] neg_lo:[1,0,0] neg_hi:[1,0,0]
	v_pk_mul_f16 v41, 0x3b9c, v40 op_sel_hi:[0,1]
	v_pk_mul_f16 v70, 0x38b4, v39 op_sel_hi:[0,1]
	v_pk_add_f16 v42, v42, v43
	v_pk_fma_f16 v4, v44, 0.5, v4 op_sel_hi:[1,0,1] neg_lo:[1,0,0] neg_hi:[1,0,0]
	v_pk_mul_f16 v39, 0x3b9c, v39 op_sel_hi:[0,1]
	v_pk_add_f16 v14, v46, v14
	v_pk_fma_f16 v43, v47, 0.5, v36 op_sel_hi:[1,0,1] neg_lo:[1,0,0] neg_hi:[1,0,0]
	v_pk_mul_f16 v44, 0x3b9c, v48 op_sel_hi:[0,1]
	v_pk_fma_f16 v36, v52, 0.5, v36 op_sel_hi:[1,0,1] neg_lo:[1,0,0] neg_hi:[1,0,0]
	v_pk_add_f16 v47, v5, v53
	v_pk_mul_f16 v5, 0x3b9c, v49 op_sel_hi:[0,1]
	v_pk_add_f16 v27, v29, v27 neg_lo:[0,1] neg_hi:[0,1]
	v_pk_add_f16 v13, v13, v45
	v_pk_mul_f16 v45, 0x38b4, v49 op_sel_hi:[0,1]
	v_pk_add_f16 v46, v50, v51
	v_pk_add_f16 v29, v54, v29
	v_pk_fma_f16 v49, v55, 0.5, v19 op_sel_hi:[1,0,1] neg_lo:[1,0,0] neg_hi:[1,0,0]
	v_pk_mul_f16 v50, 0x3b9c, v56 op_sel_hi:[0,1]
	v_pk_fma_f16 v19, v60, 0.5, v19 op_sel_hi:[1,0,1] neg_lo:[1,0,0] neg_hi:[1,0,0]
	v_pk_mul_f16 v53, 0x3b9c, v57 op_sel_hi:[0,1]
	v_pk_add_f16 v66, v28, v30 neg_lo:[0,1] neg_hi:[0,1]
	v_pk_add_f16 v28, v30, v28 neg_lo:[0,1] neg_hi:[0,1]
	v_pk_mul_f16 v40, 0x38b4, v40 op_sel_hi:[0,1]
	v_pk_add_f16 v52, v58, v59
	v_pk_mul_f16 v54, 0x38b4, v56 op_sel_hi:[0,1]
	v_pk_add_f16 v30, v62, v30
	v_pk_fma_f16 v55, v63, 0.5, v20 op_sel_hi:[1,0,1] neg_lo:[1,0,0] neg_hi:[1,0,0]
	v_pk_mul_f16 v56, 0x3b9c, v64 op_sel_hi:[0,1]
	v_pk_fma_f16 v20, v68, 0.5, v20 op_sel_hi:[1,0,1] neg_lo:[1,0,0] neg_hi:[1,0,0]
	v_pk_mul_f16 v59, 0x3b9c, v65 op_sel_hi:[0,1]
	v_pk_add_f16 v15, v15, v17
	v_pk_add_f16 v17, v41, v37 op_sel:[1,0] op_sel_hi:[0,1]
	v_pk_add_f16 v37, v37, v41 op_sel:[0,1] op_sel_hi:[1,0] neg_lo:[0,1] neg_hi:[0,1]
	v_pk_add_f16 v41, v4, v39 op_sel:[0,1] op_sel_hi:[1,0]
	v_pk_add_f16 v39, v4, v39 op_sel:[0,1] op_sel_hi:[1,0] neg_lo:[0,1] neg_hi:[0,1]
	v_pk_add_f16 v14, v14, v16
	v_pk_add_f16 v16, v43, v44 op_sel:[0,1] op_sel_hi:[1,0] neg_lo:[0,1] neg_hi:[0,1]
	v_pk_add_f16 v43, v43, v44 op_sel:[0,1] op_sel_hi:[1,0]
	v_pk_mul_f16 v48, 0x38b4, v48 op_sel_hi:[0,1]
	v_pk_add_f16 v44, v36, v5 op_sel:[0,1] op_sel_hi:[1,0]
	v_pk_add_f16 v5, v36, v5 op_sel:[0,1] op_sel_hi:[1,0] neg_lo:[0,1] neg_hi:[0,1]
	v_pk_add_f16 v61, v31, v33 neg_lo:[0,1] neg_hi:[0,1]
	v_pk_mul_f16 v51, 0x38b4, v57 op_sel_hi:[0,1]
	v_pk_add_f16 v29, v29, v31
	v_pk_add_f16 v31, v49, v50 op_sel:[0,1] op_sel_hi:[1,0] neg_lo:[0,1] neg_hi:[0,1]
	v_pk_add_f16 v36, v49, v50 op_sel:[0,1] op_sel_hi:[1,0]
	v_pk_add_f16 v49, v19, v53 op_sel:[0,1] op_sel_hi:[1,0]
	v_pk_add_f16 v19, v19, v53 op_sel:[0,1] op_sel_hi:[1,0] neg_lo:[0,1] neg_hi:[0,1]
	v_pk_add_f16 v67, v34, v32 neg_lo:[0,1] neg_hi:[0,1]
	v_pk_add_f16 v69, v32, v34 neg_lo:[0,1] neg_hi:[0,1]
	v_pk_mul_f16 v57, 0x38b4, v65 op_sel_hi:[0,1]
	v_pk_mul_f16 v60, 0x38b4, v64 op_sel_hi:[0,1]
	v_pk_add_f16 v30, v30, v32
	v_pk_add_f16 v32, v55, v56 op_sel:[0,1] op_sel_hi:[1,0] neg_lo:[0,1] neg_hi:[0,1]
	v_pk_add_f16 v50, v55, v56 op_sel:[0,1] op_sel_hi:[1,0]
	v_pk_add_f16 v53, v20, v59 op_sel:[0,1] op_sel_hi:[1,0]
	v_pk_add_f16 v20, v20, v59 op_sel:[0,1] op_sel_hi:[1,0] neg_lo:[0,1] neg_hi:[0,1]
	v_pk_add_f16 v4, v15, v8
	v_pk_add_f16 v8, v17, v70 op_sel:[0,1] op_sel_hi:[1,0] neg_lo:[0,1] neg_hi:[0,1]
	v_pk_add_f16 v15, v70, v37 op_sel:[1,0] op_sel_hi:[0,1]
	v_pk_add_f16 v17, v39, v40 op_sel:[0,1] op_sel_hi:[1,0] neg_lo:[0,1] neg_hi:[0,1]
	v_pk_add_f16 v37, v41, v40 op_sel:[0,1] op_sel_hi:[1,0]
	v_pk_add_f16 v14, v14, v18
	v_pk_add_f16 v16, v16, v45 op_sel:[0,1] op_sel_hi:[1,0] neg_lo:[0,1] neg_hi:[0,1]
	v_pk_add_f16 v18, v43, v45 op_sel:[0,1] op_sel_hi:[1,0]
	v_pk_add_f16 v39, v44, v48 op_sel:[0,1] op_sel_hi:[1,0] neg_lo:[0,1] neg_hi:[0,1]
	v_pk_add_f16 v5, v5, v48 op_sel:[0,1] op_sel_hi:[1,0]
	;; [unrolled: 5-line block ×4, first 2 shown]
	v_pk_fma_f16 v8, 0x34f2, v42, v8 op_sel_hi:[0,1,1]
	v_bfi_b32 v43, 0xffff, v17, v37
	v_bfi_b32 v17, 0xffff, v37, v17
	v_pk_fma_f16 v30, 0x34f2, v42, v15 op_sel_hi:[0,1,1]
	v_bfi_b32 v15, 0xffff, v16, v18
	v_bfi_b32 v42, 0xffff, v39, v5
	;; [unrolled: 1-line block ×4, first 2 shown]
	v_pk_add_f16 v27, v27, v61
	v_bfi_b32 v18, 0xffff, v31, v33
	v_bfi_b32 v44, 0xffff, v36, v19
	;; [unrolled: 1-line block ×4, first 2 shown]
	v_pk_add_f16 v58, v66, v67
	v_pk_add_f16 v28, v28, v69
	v_bfi_b32 v36, 0xffff, v32, v40
	v_bfi_b32 v45, 0xffff, v41, v20
	;; [unrolled: 1-line block ×4, first 2 shown]
	v_pk_fma_f16 v5, 0x34f2, v13, v43 op_sel_hi:[0,1,1]
	v_pk_fma_f16 v31, 0x34f2, v13, v17 op_sel_hi:[0,1,1]
	v_lshrrev_b32_e32 v37, 16, v8
	v_pk_fma_f16 v13, 0x34f2, v46, v15 op_sel_hi:[0,1,1]
	v_pk_fma_f16 v15, 0x34f2, v47, v42 op_sel_hi:[0,1,1]
	;; [unrolled: 1-line block ×12, first 2 shown]
	ds_store_2addr_b32 v21, v14, v13 offset1:1
	ds_store_2addr_b32 v21, v15, v17 offset0:2 offset1:3
	ds_store_b32 v21, v16 offset:16
	ds_store_b32 v21, v27 offset:1516
	ds_store_2addr_b32 v11, v29, v18 offset1:1
	ds_store_2addr_b32 v35, v39, v19 offset1:1
	;; [unrolled: 1-line block ×3, first 2 shown]
	ds_store_2addr_b32 v38, v36, v20 offset0:2 offset1:3
	ds_store_b32 v38, v28 offset:16
	s_and_saveexec_b32 s1, s0
	s_cbranch_execz .LBB0_18
; %bb.17:
	v_lshl_add_u32 v6, v23, 2, v6
	v_alignbit_b32 v13, v30, v30, 16
	s_delay_alu instid0(VALU_DEP_2)
	v_add_nc_u32_e32 v11, 0x5dc, v6
	ds_store_2addr_b32 v11, v4, v5 offset1:1
	ds_store_b16 v6, v8 offset:1508
	ds_store_b32 v6, v13 offset:1510
	ds_store_b16 v6, v37 offset:1514
	ds_store_b32 v6, v31 offset:1516
.LBB0_18:
	s_wait_alu 0xfffe
	s_or_b32 exec_lo, exec_lo, s1
	v_add_nc_u32_e32 v6, 0x200, v1
	v_add_nc_u32_e32 v11, 0xa00, v1
	global_wb scope:SCOPE_SE
	s_wait_dscnt 0x0
	s_barrier_signal -1
	s_barrier_wait -1
	global_inv scope:SCOPE_SE
	ds_load_b32 v32, v24
	ds_load_2addr_b32 v[18:19], v6 offset0:112 offset1:187
	ds_load_2addr_b32 v[14:15], v7 offset0:134 offset1:224
	;; [unrolled: 1-line block ×7, first 2 shown]
	v_lshrrev_b32_e32 v38, 16, v31
	s_and_saveexec_b32 s1, s0
	s_cbranch_execz .LBB0_20
; %bb.19:
	v_add_nc_u32_e32 v4, 0xb00, v1
	ds_load_b32 v31, v1 offset:4740
	ds_load_2addr_b32 v[8:9], v4 offset0:1 offset1:241
	v_add_nc_u32_e32 v4, 0x380, v1
	ds_load_2addr_b32 v[4:5], v4 offset0:1 offset1:241
	s_wait_dscnt 0x2
	v_lshrrev_b32_e32 v38, 16, v31
	s_wait_dscnt 0x1
	v_lshrrev_b32_e32 v37, 16, v9
	v_bfi_b32 v30, 0xffff, v9, v8
.LBB0_20:
	s_wait_alu 0xfffe
	s_or_b32 exec_lo, exec_lo, s1
	v_and_b32_e32 v9, 0xff, v0
	v_add_nc_u32_e32 v29, 0x4b, v0
	v_add_nc_u32_e32 v28, 0xe1, v0
	s_wait_dscnt 0x6
	v_lshrrev_b32_e32 v66, 16, v18
	s_wait_dscnt 0x5
	v_lshrrev_b32_e32 v67, 16, v15
	v_mul_lo_u16 v27, 0xcd, v9
	v_and_b32_e32 v33, 0xff, v29
	v_and_b32_e32 v36, 0xffff, v28
	s_wait_dscnt 0x4
	v_lshrrev_b32_e32 v68, 16, v20
	s_wait_dscnt 0x3
	v_lshrrev_b32_e32 v69, 16, v11
	v_lshrrev_b16 v39, 10, v27
	v_mul_lo_u16 v33, 0xcd, v33
	v_add_nc_u32_e32 v27, 0x96, v0
	s_wait_dscnt 0x0
	v_lshrrev_b32_e32 v61, 16, v12
	v_lshrrev_b32_e32 v62, 16, v14
	v_mul_lo_u16 v34, v39, 5
	v_lshrrev_b16 v56, 10, v33
	v_and_b32_e32 v35, 0xff, v27
	v_mul_u32_u24_e32 v33, 0xcccd, v36
	v_and_b32_e32 v74, 0xffff, v39
	v_sub_nc_u16 v34, v0, v34
	v_lshrrev_b32_e32 v63, 16, v17
	v_mul_lo_u16 v35, 0xcd, v35
	v_lshrrev_b32_e32 v33, 18, v33
	v_mad_u32_u24 v74, 0x64, v74, 0
	v_and_b32_e32 v57, 0xff, v34
	v_mul_lo_u16 v34, v56, 5
	v_lshrrev_b16 v58, 10, v35
	v_mul_lo_u16 v33, v33, 5
	v_and_b32_e32 v56, 0xffff, v56
	v_lshlrev_b32_e32 v35, 4, v57
	v_sub_nc_u16 v34, v29, v34
	v_mul_lo_u16 v36, v58, 5
	v_sub_nc_u16 v33, v28, v33
	v_and_b32_e32 v58, 0xffff, v58
	global_load_b128 v[40:43], v35, s[4:5]
	v_and_b32_e32 v59, 0xff, v34
	v_lshlrev_b32_e32 v57, 2, v57
	v_and_b32_e32 v33, 0xffff, v33
	v_mad_u32_u24 v56, 0x64, v56, 0
	v_mad_u32_u24 v58, 0x64, v58, 0
	v_lshlrev_b32_e32 v34, 4, v59
	v_lshlrev_b32_e32 v59, 2, v59
	v_add3_u32 v57, v74, v57, v25
	v_lshrrev_b32_e32 v64, 16, v10
	v_lshrrev_b32_e32 v65, 16, v13
	global_load_b128 v[44:47], v34, s[4:5]
	v_sub_nc_u16 v35, v27, v36
	v_lshlrev_b32_e32 v34, 4, v33
	v_add3_u32 v56, v56, v59, v25
	v_lshrrev_b32_e32 v70, 16, v19
	v_lshrrev_b32_e32 v71, 16, v16
	v_and_b32_e32 v60, 0xff, v35
	v_lshrrev_b32_e32 v72, 16, v21
	v_lshrrev_b32_e32 v73, 16, v5
	;; [unrolled: 1-line block ×4, first 2 shown]
	v_lshlrev_b32_e32 v35, 4, v60
	v_lshlrev_b32_e32 v60, 2, v60
	v_lshrrev_b32_e32 v39, 16, v4
	s_clause 0x1
	global_load_b128 v[48:51], v35, s[4:5]
	global_load_b128 v[52:55], v34, s[4:5]
	v_add3_u32 v58, v58, v60, v25
	v_lshrrev_b32_e32 v35, 16, v6
	v_lshrrev_b32_e32 v34, 16, v7
	global_wb scope:SCOPE_SE
	s_wait_loadcnt 0x0
	s_barrier_signal -1
	s_barrier_wait -1
	global_inv scope:SCOPE_SE
	v_lshrrev_b32_e32 v59, 16, v40
	v_lshrrev_b32_e32 v60, 16, v41
	;; [unrolled: 1-line block ×4, first 2 shown]
	s_delay_alu instid0(VALU_DEP_4)
	v_mul_f16_e32 v77, v59, v66
	v_mul_f16_e32 v59, v59, v18
	;; [unrolled: 1-line block ×8, first 2 shown]
	v_lshrrev_b32_e32 v81, 16, v44
	v_lshrrev_b32_e32 v82, 16, v45
	;; [unrolled: 1-line block ×4, first 2 shown]
	v_fma_f16 v59, v40, v66, -v59
	v_fma_f16 v60, v41, v67, -v60
	;; [unrolled: 1-line block ×3, first 2 shown]
	v_fmac_f16_e32 v77, v40, v18
	v_fmac_f16_e32 v78, v41, v15
	;; [unrolled: 1-line block ×4, first 2 shown]
	v_fma_f16 v20, v43, v69, -v76
	v_mul_f16_e32 v41, v81, v70
	v_lshrrev_b32_e32 v85, 16, v48
	v_lshrrev_b32_e32 v86, 16, v49
	;; [unrolled: 1-line block ×8, first 2 shown]
	v_mul_f16_e32 v42, v81, v19
	v_mul_f16_e32 v43, v82, v71
	;; [unrolled: 1-line block ×23, first 2 shown]
	v_fmac_f16_e32 v41, v44, v19
	v_fmac_f16_e32 v68, v46, v21
	v_fma_f16 v19, v44, v70, -v42
	v_fma_f16 v21, v45, v71, -v67
	;; [unrolled: 1-line block ×3, first 2 shown]
	v_fmac_f16_e32 v43, v45, v16
	v_fmac_f16_e32 v74, v12, v47
	v_fma_f16 v45, v61, v47, -v76
	v_fmac_f16_e32 v81, v14, v48
	v_fma_f16 v14, v62, v48, -v82
	;; [unrolled: 2-line block ×5, first 2 shown]
	v_fmac_f16_e32 v40, v5, v52
	v_fmac_f16_e32 v18, v8, v53
	;; [unrolled: 1-line block ×3, first 2 shown]
	v_fma_f16 v8, v37, v54, -v91
	v_fmac_f16_e32 v11, v31, v55
	v_fma_f16 v5, v38, v55, -v92
	v_add_f16_e32 v13, v32, v77
	v_add_f16_e32 v16, v78, v79
	v_sub_f16_e32 v30, v59, v20
	v_sub_f16_e32 v17, v77, v78
	;; [unrolled: 1-line block ×3, first 2 shown]
	v_add_f16_e32 v38, v77, v80
	v_sub_f16_e32 v44, v78, v77
	v_sub_f16_e32 v49, v79, v80
	v_add_f16_e32 v50, v36, v59
	v_add_f16_e32 v51, v60, v66
	v_sub_f16_e32 v54, v59, v60
	v_sub_f16_e32 v55, v20, v66
	v_add_f16_e32 v61, v59, v20
	v_sub_f16_e32 v59, v60, v59
	v_sub_f16_e32 v62, v66, v20
	v_fma_f16 v12, v73, v52, -v89
	v_fma_f16 v10, v75, v53, -v90
	v_sub_f16_e32 v52, v77, v80
	v_sub_f16_e32 v53, v78, v79
	v_add_f16_e32 v63, v13, v78
	v_fma_f16 v64, -0.5, v16, v32
	v_add_f16_e32 v65, v17, v37
	v_fmac_f16_e32 v32, -0.5, v38
	v_add_f16_e32 v49, v44, v49
	v_add_f16_e32 v37, v50, v60
	v_fma_f16 v50, -0.5, v51, v36
	v_add_f16_e32 v51, v54, v55
	v_fmac_f16_e32 v36, -0.5, v61
	v_add_f16_e32 v54, v59, v62
	v_add_f16_e32 v38, v6, v41
	;; [unrolled: 1-line block ×3, first 2 shown]
	v_sub_f16_e32 v59, v19, v45
	v_sub_f16_e32 v44, v41, v43
	v_add_f16_e32 v62, v41, v74
	v_sub_f16_e32 v67, v43, v41
	v_sub_f16_e32 v69, v68, v74
	v_add_f16_e32 v70, v35, v19
	v_add_f16_e32 v71, v21, v46
	v_sub_f16_e32 v72, v41, v74
	v_sub_f16_e32 v41, v19, v21
	;; [unrolled: 1-line block ×3, first 2 shown]
	v_add_f16_e32 v76, v19, v45
	v_sub_f16_e32 v19, v21, v19
	v_sub_f16_e32 v77, v46, v45
	v_add_f16_e32 v78, v7, v81
	v_add_f16_e32 v82, v83, v85
	;; [unrolled: 1-line block ×3, first 2 shown]
	v_sub_f16_e32 v91, v83, v81
	v_sub_f16_e32 v92, v85, v87
	v_add_f16_e32 v93, v34, v14
	v_sub_f16_e32 v31, v60, v66
	v_sub_f16_e32 v88, v81, v83
	;; [unrolled: 1-line block ×3, first 2 shown]
	v_add_f16_e32 v94, v42, v47
	v_add_f16_e32 v98, v14, v48
	v_sub_f16_e32 v60, v21, v46
	v_add_f16_e32 v101, v18, v15
	v_add_f16_e32 v110, v40, v11
	;; [unrolled: 1-line block ×9, first 2 shown]
	v_fma_f16 v70, -0.5, v71, v35
	v_add_f16_e32 v71, v19, v77
	v_add_f16_e32 v75, v78, v83
	v_fma_f16 v77, -0.5, v82, v7
	v_fmac_f16_e32 v7, -0.5, v90
	v_add_f16_e32 v78, v91, v92
	v_add_f16_e32 v82, v93, v42
	v_fmamk_f16 v90, v30, 0xbb9c, v64
	v_fmamk_f16 v92, v52, 0x3b9c, v50
	v_fmac_f16_e32 v50, 0xbb9c, v52
	v_fmamk_f16 v93, v53, 0xbb9c, v36
	v_fmac_f16_e32 v36, 0x3b9c, v53
	v_fma_f16 v55, -0.5, v55, v6
	v_sub_f16_e32 v73, v43, v68
	v_fmac_f16_e32 v35, -0.5, v76
	v_fmamk_f16 v91, v31, 0x3b9c, v32
	v_fmac_f16_e32 v32, 0xbb9c, v31
	v_fma_f16 v62, -0.5, v62, v6
	v_fmac_f16_e32 v64, 0x3b9c, v30
	v_sub_f16_e32 v84, v14, v48
	v_sub_f16_e32 v81, v81, v87
	v_add_f16_e32 v76, v88, v89
	v_fma_f16 v88, -0.5, v94, v34
	v_sub_f16_e32 v86, v42, v47
	v_sub_f16_e32 v95, v83, v85
	;; [unrolled: 1-line block ×4, first 2 shown]
	v_fmac_f16_e32 v34, -0.5, v98
	v_sub_f16_e32 v61, v74, v68
	v_sub_f16_e32 v99, v42, v14
	;; [unrolled: 1-line block ×6, first 2 shown]
	v_add_f16_e32 v66, v37, v66
	v_fma_f16 v6, -0.5, v101, v4
	v_fma_f16 v38, -0.5, v110, v4
	;; [unrolled: 1-line block ×4, first 2 shown]
	v_fmac_f16_e32 v90, 0xb8b4, v31
	v_fmac_f16_e32 v92, 0x38b4, v53
	;; [unrolled: 1-line block ×5, first 2 shown]
	v_add_f16_e32 v52, v79, v68
	v_fmamk_f16 v53, v59, 0xbb9c, v55
	v_fmamk_f16 v79, v72, 0x3b9c, v70
	v_add_f16_e32 v63, v63, v80
	v_fmac_f16_e32 v91, 0xb8b4, v30
	v_fmac_f16_e32 v32, 0x38b4, v30
	v_fmamk_f16 v68, v60, 0x3b9c, v62
	v_fmac_f16_e32 v62, 0xbb9c, v60
	v_fmamk_f16 v80, v73, 0xbb9c, v35
	v_fmac_f16_e32 v35, 0x3b9c, v73
	v_fmac_f16_e32 v64, 0x38b4, v31
	v_fmac_f16_e32 v55, 0x3b9c, v59
	v_fmac_f16_e32 v70, 0xbb9c, v72
	v_sub_f16_e32 v100, v47, v48
	v_add_f16_e32 v47, v82, v47
	v_fmamk_f16 v82, v84, 0xbb9c, v77
	v_fmamk_f16 v94, v81, 0x3b9c, v88
	v_add_f16_e32 v83, v96, v97
	v_add_f16_e32 v75, v75, v85
	v_fmamk_f16 v85, v86, 0x3b9c, v7
	v_fmac_f16_e32 v7, 0xbb9c, v86
	v_fmamk_f16 v96, v95, 0xbb9c, v34
	v_fmac_f16_e32 v34, 0x3b9c, v95
	v_sub_f16_e32 v102, v40, v18
	v_sub_f16_e32 v103, v11, v15
	;; [unrolled: 1-line block ×8, first 2 shown]
	v_add_f16_e32 v61, v44, v61
	v_add_f16_e32 v66, v66, v20
	;; [unrolled: 1-line block ×3, first 2 shown]
	v_fmac_f16_e32 v77, 0x3b9c, v84
	v_fmac_f16_e32 v88, 0xbb9c, v81
	v_fmamk_f16 v20, v13, 0xbb9c, v6
	v_fmamk_f16 v21, v14, 0x3b9c, v38
	;; [unrolled: 1-line block ×4, first 2 shown]
	v_fmac_f16_e32 v90, 0x34f2, v65
	v_fmac_f16_e32 v92, 0x34f2, v51
	v_fmac_f16_e32 v53, 0xb8b4, v60
	v_fmac_f16_e32 v79, 0x38b4, v73
	v_fmac_f16_e32 v91, 0x34f2, v49
	v_fmac_f16_e32 v32, 0x34f2, v49
	v_fmac_f16_e32 v93, 0x34f2, v54
	v_fmac_f16_e32 v36, 0x34f2, v54
	v_fmac_f16_e32 v68, 0xb8b4, v59
	v_fmac_f16_e32 v62, 0x38b4, v59
	v_fmac_f16_e32 v80, 0x38b4, v72
	v_fmac_f16_e32 v35, 0xb8b4, v72
	v_fmac_f16_e32 v64, 0x34f2, v65
	v_fmac_f16_e32 v50, 0x34f2, v51
	v_fmac_f16_e32 v55, 0x38b4, v60
	v_fmac_f16_e32 v70, 0xb8b4, v73
	v_fmac_f16_e32 v82, 0xb8b4, v86
	v_fmac_f16_e32 v94, 0x38b4, v95
	v_add_f16_e32 v89, v99, v100
	v_fmac_f16_e32 v85, 0xb8b4, v84
	v_fmac_f16_e32 v7, 0x38b4, v84
	;; [unrolled: 1-line block ×4, first 2 shown]
	v_add_f16_e32 v44, v102, v103
	v_add_f16_e32 v43, v104, v105
	;; [unrolled: 1-line block ×6, first 2 shown]
	v_fmac_f16_e32 v77, 0x38b4, v86
	v_add_f16_e32 v47, v47, v48
	v_fmac_f16_e32 v88, 0xb8b4, v95
	v_fmac_f16_e32 v20, 0xb8b4, v14
	;; [unrolled: 1-line block ×5, first 2 shown]
	v_pack_b32_f16 v48, v63, v66
	v_fmac_f16_e32 v53, 0x34f2, v61
	v_fmac_f16_e32 v79, 0x34f2, v69
	v_pack_b32_f16 v51, v90, v92
	v_fmac_f16_e32 v68, 0x34f2, v67
	v_fmac_f16_e32 v62, 0x34f2, v67
	;; [unrolled: 1-line block ×4, first 2 shown]
	v_pack_b32_f16 v52, v91, v93
	v_pack_b32_f16 v32, v32, v36
	v_add_f16_e32 v46, v75, v87
	v_fmac_f16_e32 v55, 0x34f2, v61
	v_fmac_f16_e32 v70, 0x34f2, v69
	v_pack_b32_f16 v36, v64, v50
	v_fmac_f16_e32 v82, 0x34f2, v76
	v_fmac_f16_e32 v94, 0x34f2, v83
	;; [unrolled: 1-line block ×12, first 2 shown]
	v_pack_b32_f16 v45, v49, v45
	ds_store_2addr_b32 v57, v48, v51 offset1:5
	ds_store_2addr_b32 v57, v52, v32 offset0:10 offset1:15
	ds_store_b32 v57, v36 offset:80
	v_pack_b32_f16 v32, v53, v79
	v_pack_b32_f16 v36, v68, v80
	;; [unrolled: 1-line block ×9, first 2 shown]
	ds_store_2addr_b32 v56, v45, v32 offset1:5
	ds_store_2addr_b32 v56, v36, v35 offset0:10 offset1:15
	ds_store_b32 v56, v47 offset:80
	ds_store_2addr_b32 v58, v46, v48 offset1:5
	ds_store_2addr_b32 v58, v49, v7 offset0:10 offset1:15
	ds_store_b32 v58, v34 offset:80
	s_and_saveexec_b32 s1, s0
	s_cbranch_execz .LBB0_22
; %bb.21:
	v_add_f16_e32 v12, v39, v12
	v_add_f16_e32 v4, v4, v40
	v_mul_f16_e32 v32, 0x38b4, v14
	v_mul_f16_e32 v14, 0x3b9c, v14
	;; [unrolled: 1-line block ×3, first 2 shown]
	v_add_f16_e32 v10, v12, v10
	v_and_b32_e32 v12, 0xff, v28
	v_add_f16_e32 v4, v4, v18
	v_mul_f16_e32 v39, 0x38b4, v17
	v_mul_f16_e32 v17, 0x3b9c, v17
	v_add_f16_e32 v8, v10, v8
	v_mul_lo_u16 v10, 0xcd, v12
	v_add_f16_e32 v4, v4, v15
	v_mul_f16_e32 v7, 0x3b9c, v13
	v_mul_f16_e32 v13, 0x38b4, v13
	v_add_f16_e32 v5, v8, v5
	v_lshrrev_b16 v8, 10, v10
	v_mul_f16_e32 v12, 0x38b4, v16
	v_add_f16_e32 v4, v4, v11
	v_add_f16_e32 v10, v17, v42
	v_sub_f16_e32 v11, v41, v36
	v_sub_f16_e32 v14, v38, v14
	v_add_f16_e32 v6, v6, v7
	v_and_b32_e32 v7, 0xffff, v8
	v_mul_f16_e32 v35, 0x34f2, v43
	v_mul_f16_e32 v15, 0x34f2, v19
	v_sub_f16_e32 v8, v10, v12
	v_sub_f16_e32 v10, v11, v39
	v_add_f16_e32 v11, v13, v14
	v_mul_f16_e32 v34, 0x34f2, v44
	v_mul_f16_e32 v18, 0x34f2, v37
	v_add_f16_e32 v6, v32, v6
	v_mad_u32_u24 v7, 0x64, v7, 0
	v_lshlrev_b32_e32 v12, 2, v33
	v_add_f16_e32 v8, v15, v8
	v_add_f16_e32 v11, v35, v11
	;; [unrolled: 1-line block ×4, first 2 shown]
	v_add3_u32 v7, v7, v12, v25
	v_pack_b32_f16 v4, v4, v5
	v_perm_b32 v5, v30, v20, 0x5040100
	v_perm_b32 v12, v31, v21, 0x5040100
	v_pack_b32_f16 v8, v11, v8
	v_pack_b32_f16 v6, v6, v10
	ds_store_2addr_b32 v7, v4, v5 offset1:5
	ds_store_2addr_b32 v7, v12, v8 offset0:10 offset1:15
	ds_store_b32 v7, v6 offset:80
.LBB0_22:
	s_wait_alu 0xfffe
	s_or_b32 exec_lo, exec_lo, s1
	v_mul_lo_u16 v4, v9, 41
	global_wb scope:SCOPE_SE
	s_wait_dscnt 0x0
	s_barrier_signal -1
	s_barrier_wait -1
	global_inv scope:SCOPE_SE
	v_lshrrev_b16 v49, 10, v4
	v_add_nc_u32_e32 v5, 0x800, v1
	v_add_nc_u32_e32 v8, 0xc00, v1
	;; [unrolled: 1-line block ×4, first 2 shown]
	v_mul_lo_u16 v4, v49, 25
	v_and_b32_e32 v49, 0xffff, v49
	v_add_nc_u32_e32 v53, 0xa00, v1
	v_add_nc_u32_e32 v54, 0x1000, v1
	v_cmp_gt_u32_e64 s0, 25, v0
	v_sub_nc_u16 v4, v0, v4
	v_mad_u32_u24 v49, 0x640, v49, 0
	s_delay_alu instid0(VALU_DEP_2) | instskip(NEXT) | instid1(VALU_DEP_1)
	v_and_b32_e32 v50, 0xff, v4
	v_mul_u32_u24_e32 v4, 15, v50
	v_lshlrev_b32_e32 v50, 2, v50
	s_delay_alu instid0(VALU_DEP_2) | instskip(NEXT) | instid1(VALU_DEP_2)
	v_lshlrev_b32_e32 v4, 2, v4
	v_add3_u32 v49, v49, v50, v25
	s_clause 0x3
	global_load_b128 v[9:12], v4, s[4:5] offset:80
	global_load_b128 v[13:16], v4, s[4:5] offset:96
	;; [unrolled: 1-line block ×3, first 2 shown]
	global_load_b96 v[17:19], v4, s[4:5] offset:128
	v_add_nc_u32_e32 v4, 0x200, v1
	ds_load_b32 v51, v1 offset:4500
	ds_load_2addr_b32 v[6:7], v1 offset0:75 offset1:150
	v_add_nc_u32_e32 v50, 0x200, v49
	ds_load_b32 v52, v24
	ds_load_2addr_b32 v[37:38], v4 offset0:97 offset1:172
	ds_load_2addr_b32 v[39:40], v32 offset0:119 offset1:194
	;; [unrolled: 1-line block ×6, first 2 shown]
	v_add_nc_u32_e32 v71, 0x400, v49
	global_wb scope:SCOPE_SE
	s_wait_loadcnt_dscnt 0x0
	s_barrier_signal -1
	s_barrier_wait -1
	global_inv scope:SCOPE_SE
	v_lshrrev_b32_e32 v55, 16, v51
	v_lshrrev_b32_e32 v56, 16, v6
	;; [unrolled: 1-line block ×31, first 2 shown]
	v_mul_f16_e32 v86, v25, v56
	v_mul_f16_e32 v25, v25, v6
	;; [unrolled: 1-line block ×30, first 2 shown]
	v_fmac_f16_e32 v86, v9, v6
	v_fmac_f16_e32 v87, v10, v7
	v_fma_f16 v6, v9, v56, -v25
	v_fma_f16 v7, v10, v57, -v72
	;; [unrolled: 1-line block ×3, first 2 shown]
	v_fmac_f16_e32 v88, v11, v37
	v_fmac_f16_e32 v89, v38, v12
	v_fma_f16 v10, v59, v12, -v74
	v_fmac_f16_e32 v90, v39, v13
	v_fma_f16 v11, v60, v13, -v75
	;; [unrolled: 2-line block ×12, first 2 shown]
	v_sub_f16_e32 v34, v52, v93
	v_sub_f16_e32 v14, v58, v14
	;; [unrolled: 1-line block ×16, first 2 shown]
	v_fma_f16 v42, v52, 2.0, -v34
	v_fma_f16 v44, v89, 2.0, -v35
	v_fma_f16 v10, v10, 2.0, -v33
	v_fma_f16 v45, v87, 2.0, -v36
	v_fma_f16 v46, v91, 2.0, -v37
	v_fma_f16 v12, v12, 2.0, -v18
	v_fma_f16 v47, v86, 2.0, -v38
	v_fma_f16 v48, v90, 2.0, -v39
	v_fma_f16 v11, v11, 2.0, -v17
	v_fma_f16 v51, v88, 2.0, -v40
	v_fma_f16 v52, v92, 2.0, -v41
	v_fma_f16 v13, v13, 2.0, -v19
	v_add_f16_e32 v33, v34, v33
	v_sub_f16_e32 v35, v14, v35
	v_add_f16_e32 v18, v36, v18
	v_sub_f16_e32 v37, v16, v37
	;; [unrolled: 2-line block ×4, first 2 shown]
	v_fma_f16 v43, v58, 2.0, -v14
	v_fma_f16 v7, v7, 2.0, -v16
	;; [unrolled: 1-line block ×4, first 2 shown]
	v_sub_f16_e32 v44, v42, v44
	v_fma_f16 v34, v34, 2.0, -v33
	v_fma_f16 v14, v14, 2.0, -v35
	v_sub_f16_e32 v46, v45, v46
	v_fma_f16 v36, v36, 2.0, -v18
	v_fma_f16 v16, v16, 2.0, -v37
	;; [unrolled: 3-line block ×4, first 2 shown]
	v_fmamk_f16 v55, v18, 0x39a8, v33
	v_fmamk_f16 v56, v37, 0x39a8, v35
	v_sub_f16_e32 v10, v43, v10
	v_sub_f16_e32 v12, v7, v12
	;; [unrolled: 1-line block ×4, first 2 shown]
	v_fmamk_f16 v57, v19, 0x39a8, v17
	v_fmamk_f16 v58, v41, 0x39a8, v39
	v_fma_f16 v42, v42, 2.0, -v44
	v_fma_f16 v45, v45, 2.0, -v46
	;; [unrolled: 1-line block ×4, first 2 shown]
	v_fmamk_f16 v59, v36, 0xb9a8, v34
	v_fmamk_f16 v60, v16, 0xb9a8, v14
	v_fmac_f16_e32 v55, 0x39a8, v37
	v_fmac_f16_e32 v56, 0xb9a8, v18
	v_fmamk_f16 v18, v40, 0xb9a8, v38
	v_fmamk_f16 v37, v25, 0xb9a8, v15
	v_fma_f16 v7, v7, 2.0, -v12
	v_fma_f16 v9, v9, 2.0, -v13
	v_add_f16_e32 v12, v44, v12
	v_sub_f16_e32 v46, v10, v46
	v_add_f16_e32 v13, v48, v13
	v_sub_f16_e32 v52, v11, v52
	v_fmac_f16_e32 v57, 0x39a8, v41
	v_fmac_f16_e32 v58, 0xb9a8, v19
	v_fma_f16 v43, v43, 2.0, -v10
	v_fma_f16 v6, v6, 2.0, -v11
	v_sub_f16_e32 v19, v42, v45
	v_fmac_f16_e32 v59, 0x39a8, v16
	v_fmac_f16_e32 v60, 0xb9a8, v36
	v_sub_f16_e32 v41, v47, v51
	v_fmac_f16_e32 v18, 0x39a8, v25
	v_fmac_f16_e32 v37, 0xb9a8, v40
	v_fma_f16 v16, v44, 2.0, -v12
	v_fma_f16 v10, v10, 2.0, -v46
	v_fma_f16 v36, v33, 2.0, -v55
	v_fma_f16 v35, v35, 2.0, -v56
	v_fma_f16 v40, v48, 2.0, -v13
	v_fma_f16 v11, v11, 2.0, -v52
	v_fma_f16 v17, v17, 2.0, -v57
	v_fma_f16 v39, v39, 2.0, -v58
	v_sub_f16_e32 v7, v43, v7
	v_sub_f16_e32 v9, v6, v9
	v_fmamk_f16 v44, v13, 0x39a8, v12
	v_fmamk_f16 v45, v52, 0x39a8, v46
	v_fmamk_f16 v25, v57, 0x3b64, v55
	v_fmamk_f16 v33, v58, 0x3b64, v56
	v_fma_f16 v42, v42, 2.0, -v19
	v_fma_f16 v34, v34, 2.0, -v59
	;; [unrolled: 1-line block ×6, first 2 shown]
	v_fmamk_f16 v48, v40, 0xb9a8, v16
	v_fmamk_f16 v51, v11, 0xb9a8, v10
	;; [unrolled: 1-line block ×6, first 2 shown]
	v_fma_f16 v6, v6, 2.0, -v9
	v_add_f16_e32 v9, v19, v9
	v_sub_f16_e32 v41, v7, v41
	v_fmac_f16_e32 v44, 0x39a8, v52
	v_fmac_f16_e32 v45, 0xb9a8, v13
	;; [unrolled: 1-line block ×4, first 2 shown]
	v_fma_f16 v43, v43, 2.0, -v7
	v_sub_f16_e32 v13, v42, v47
	v_fmamk_f16 v47, v38, 0xbb64, v34
	v_fmamk_f16 v52, v15, 0xbb64, v14
	v_fmac_f16_e32 v48, 0x39a8, v11
	v_fmac_f16_e32 v51, 0xb9a8, v40
	v_fmac_f16_e32 v61, 0x3b64, v39
	v_fmac_f16_e32 v62, 0xbb64, v17
	v_fmac_f16_e32 v63, 0x3b64, v37
	v_fmac_f16_e32 v64, 0xbb64, v18
	v_fma_f16 v11, v19, 2.0, -v9
	v_fma_f16 v7, v7, 2.0, -v41
	;; [unrolled: 1-line block ×6, first 2 shown]
	v_sub_f16_e32 v6, v43, v6
	v_fmac_f16_e32 v47, 0x361f, v15
	v_fmac_f16_e32 v52, 0xb61f, v38
	v_fma_f16 v15, v16, 2.0, -v48
	v_fma_f16 v10, v10, 2.0, -v51
	;; [unrolled: 1-line block ×6, first 2 shown]
	v_pack_b32_f16 v7, v11, v7
	v_pack_b32_f16 v11, v12, v17
	;; [unrolled: 1-line block ×4, first 2 shown]
	v_fma_f16 v40, v42, 2.0, -v13
	v_fma_f16 v41, v43, 2.0, -v6
	;; [unrolled: 1-line block ×4, first 2 shown]
	v_pack_b32_f16 v37, v44, v45
	v_pack_b32_f16 v39, v25, v33
	;; [unrolled: 1-line block ×9, first 2 shown]
	ds_store_2addr_b32 v49, v11, v12 offset0:150 offset1:175
	v_pack_b32_f16 v11, v47, v52
	v_pack_b32_f16 v34, v40, v41
	;; [unrolled: 1-line block ×3, first 2 shown]
	ds_store_2addr_b32 v71, v37, v39 offset0:94 offset1:119
	ds_store_2addr_b32 v50, v13, v17 offset0:122 offset1:147
	;; [unrolled: 1-line block ×6, first 2 shown]
	ds_store_2addr_b32 v49, v34, v12 offset1:25
	global_wb scope:SCOPE_SE
	s_wait_dscnt 0x0
	s_barrier_signal -1
	s_barrier_wait -1
	global_inv scope:SCOPE_SE
	ds_load_b32 v24, v24
	ds_load_2addr_b32 v[18:19], v32 offset0:144 offset1:219
	ds_load_2addr_b32 v[10:11], v53 offset0:60 offset1:160
	;; [unrolled: 1-line block ×7, first 2 shown]
	s_and_saveexec_b32 s1, s0
	s_cbranch_execz .LBB0_24
; %bb.23:
	ds_load_b32 v25, v1 offset:1500
	ds_load_b32 v20, v1 offset:3100
	;; [unrolled: 1-line block ×3, first 2 shown]
	s_wait_dscnt 0x2
	v_lshrrev_b32_e32 v33, 16, v25
	s_wait_dscnt 0x1
	v_lshrrev_b32_e32 v30, 16, v20
	;; [unrolled: 2-line block ×3, first 2 shown]
.LBB0_24:
	s_wait_alu 0xfffe
	s_or_b32 exec_lo, exec_lo, s1
	v_dual_mov_b32 v9, 0 :: v_dual_lshlrev_b32 v8, 1, v0
	v_lshlrev_b32_e32 v34, 1, v29
	v_lshlrev_b32_e32 v27, 1, v27
	s_delay_alu instid0(VALU_DEP_3)
	v_dual_mov_b32 v39, v9 :: v_dual_lshlrev_b32 v38, 1, v28
	v_mov_b32_e32 v35, v9
	v_lshlrev_b64_e32 v[36:37], 2, v[8:9]
	v_mov_b32_e32 v28, v9
	v_add_nc_u32_e32 v8, 0x258, v8
	v_lshlrev_b64_e32 v[38:39], 2, v[38:39]
	v_lshlrev_b64_e32 v[34:35], 2, v[34:35]
	s_wait_dscnt 0x5
	v_lshrrev_b32_e32 v52, 16, v11
	v_add_co_u32 v36, s1, s4, v36
	v_lshlrev_b64_e32 v[27:28], 2, v[27:28]
	s_wait_alu 0xf1ff
	v_add_co_ci_u32_e64 v37, s1, s5, v37, s1
	v_add_co_u32 v34, s1, s4, v34
	s_wait_alu 0xf1ff
	v_add_co_ci_u32_e64 v35, s1, s5, v35, s1
	v_add_co_u32 v27, s1, s4, v27
	v_lshlrev_b64_e32 v[40:41], 2, v[8:9]
	s_wait_alu 0xf1ff
	v_add_co_ci_u32_e64 v28, s1, s5, v28, s1
	v_add_co_u32 v38, s1, s4, v38
	s_clause 0x1
	global_load_b64 v[36:37], v[36:37], off offset:1580
	global_load_b64 v[34:35], v[34:35], off offset:1580
	s_wait_alu 0xf1ff
	v_add_co_ci_u32_e64 v39, s1, s5, v39, s1
	v_add_co_u32 v40, s1, s4, v40
	s_wait_alu 0xf1ff
	v_add_co_ci_u32_e64 v41, s1, s5, v41, s1
	s_clause 0x2
	global_load_b64 v[27:28], v[27:28], off offset:1580
	global_load_b64 v[38:39], v[38:39], off offset:1580
	;; [unrolled: 1-line block ×3, first 2 shown]
	v_lshrrev_b32_e32 v53, 16, v18
	s_wait_dscnt 0x3
	v_lshrrev_b32_e32 v48, 16, v17
	s_wait_dscnt 0x2
	v_lshrrev_b32_e32 v49, 16, v14
	v_lshrrev_b32_e32 v50, 16, v16
	;; [unrolled: 1-line block ×3, first 2 shown]
	s_wait_dscnt 0x0
	v_lshrrev_b32_e32 v43, 16, v12
	v_lshrrev_b32_e32 v45, 16, v10
	;; [unrolled: 1-line block ×4, first 2 shown]
	v_lshl_add_u32 v8, v23, 2, v26
	v_lshrrev_b32_e32 v23, 16, v24
	v_lshrrev_b32_e32 v26, 16, v6
	;; [unrolled: 1-line block ×5, first 2 shown]
	v_add_nc_u32_e32 v54, 0x600, v8
	global_wb scope:SCOPE_SE
	s_wait_loadcnt 0x0
	s_barrier_signal -1
	s_barrier_wait -1
	global_inv scope:SCOPE_SE
	v_add_nc_u32_e32 v55, 0xc00, v8
	v_add_nc_u32_e32 v56, 0x800, v8
	;; [unrolled: 1-line block ×3, first 2 shown]
	v_lshrrev_b32_e32 v57, 16, v36
	v_lshrrev_b32_e32 v58, 16, v37
	;; [unrolled: 1-line block ×4, first 2 shown]
	s_delay_alu instid0(VALU_DEP_4)
	v_mul_f16_e32 v59, v57, v53
	v_mul_f16_e32 v57, v57, v18
	;; [unrolled: 1-line block ×4, first 2 shown]
	v_lshrrev_b32_e32 v63, 16, v27
	v_lshrrev_b32_e32 v64, 16, v28
	;; [unrolled: 1-line block ×6, first 2 shown]
	v_fmac_f16_e32 v59, v36, v18
	v_fma_f16 v18, v36, v53, -v57
	v_fmac_f16_e32 v60, v37, v11
	v_fma_f16 v11, v37, v52, -v58
	v_mul_f16_e32 v36, v61, v51
	v_mul_f16_e32 v37, v61, v19
	;; [unrolled: 1-line block ×16, first 2 shown]
	v_fmac_f16_e32 v36, v34, v19
	v_fma_f16 v19, v34, v51, -v37
	v_fmac_f16_e32 v52, v35, v16
	v_fma_f16 v16, v35, v50, -v53
	;; [unrolled: 2-line block ×4, first 2 shown]
	v_add_f16_e32 v28, v59, v60
	v_sub_f16_e32 v34, v18, v11
	v_add_f16_e32 v35, v23, v18
	v_add_f16_e32 v18, v18, v11
	v_fmac_f16_e32 v63, v38, v15
	v_fma_f16 v15, v38, v47, -v64
	v_fmac_f16_e32 v65, v12, v39
	v_fma_f16 v12, v43, v39, -v66
	;; [unrolled: 2-line block ×4, first 2 shown]
	v_add_f16_e32 v27, v24, v59
	v_sub_f16_e32 v37, v59, v60
	v_fmac_f16_e32 v24, -0.5, v28
	v_add_f16_e32 v11, v35, v11
	v_fmac_f16_e32 v23, -0.5, v18
	v_add_f16_e32 v28, v36, v52
	v_sub_f16_e32 v35, v19, v16
	v_add_f16_e32 v38, v26, v19
	v_add_f16_e32 v19, v19, v16
	;; [unrolled: 1-line block ×3, first 2 shown]
	v_sub_f16_e32 v41, v14, v17
	v_add_f16_e32 v43, v29, v14
	v_add_f16_e32 v14, v14, v17
	v_add_f16_e32 v18, v6, v36
	v_add_f16_e32 v39, v7, v57
	v_sub_f16_e32 v45, v57, v61
	v_add_f16_e32 v46, v4, v63
	v_add_f16_e32 v47, v63, v65
	v_sub_f16_e32 v48, v15, v12
	v_add_f16_e32 v49, v42, v15
	v_add_f16_e32 v15, v15, v12
	;; [unrolled: 1-line block ×3, first 2 shown]
	v_sub_f16_e32 v57, v10, v13
	v_add_f16_e32 v58, v44, v10
	v_add_f16_e32 v10, v10, v13
	;; [unrolled: 1-line block ×4, first 2 shown]
	v_sub_f16_e32 v36, v36, v52
	v_fmamk_f16 v60, v34, 0xbaee, v24
	v_fmac_f16_e32 v24, 0x3aee, v34
	v_fmamk_f16 v34, v37, 0x3aee, v23
	v_fmac_f16_e32 v23, 0xbaee, v37
	v_fma_f16 v6, -0.5, v28, v6
	v_fmac_f16_e32 v26, -0.5, v19
	v_fmac_f16_e32 v7, -0.5, v40
	;; [unrolled: 1-line block ×3, first 2 shown]
	v_add_f16_e32 v18, v18, v52
	v_add_f16_e32 v16, v38, v16
	v_sub_f16_e32 v50, v63, v65
	v_sub_f16_e32 v59, v69, v70
	v_add_f16_e32 v19, v39, v61
	v_add_f16_e32 v17, v43, v17
	;; [unrolled: 1-line block ×3, first 2 shown]
	v_fma_f16 v4, -0.5, v47, v4
	v_add_f16_e32 v12, v49, v12
	v_fmac_f16_e32 v42, -0.5, v15
	v_fmac_f16_e32 v5, -0.5, v53
	;; [unrolled: 1-line block ×3, first 2 shown]
	v_add_f16_e32 v15, v51, v70
	v_add_f16_e32 v13, v58, v13
	v_pack_b32_f16 v10, v27, v11
	v_fmamk_f16 v11, v35, 0xbaee, v6
	v_fmac_f16_e32 v6, 0x3aee, v35
	v_fmamk_f16 v27, v36, 0x3aee, v26
	v_fmamk_f16 v28, v41, 0xbaee, v7
	;; [unrolled: 1-line block ×3, first 2 shown]
	v_pack_b32_f16 v23, v24, v23
	v_fmac_f16_e32 v26, 0xbaee, v36
	v_fmac_f16_e32 v7, 0x3aee, v41
	;; [unrolled: 1-line block ×3, first 2 shown]
	v_pack_b32_f16 v16, v18, v16
	v_fmamk_f16 v36, v48, 0xbaee, v4
	v_fmamk_f16 v37, v50, 0x3aee, v42
	;; [unrolled: 1-line block ×4, first 2 shown]
	v_pack_b32_f16 v17, v19, v17
	v_pack_b32_f16 v12, v14, v12
	v_fmac_f16_e32 v4, 0x3aee, v48
	v_fmac_f16_e32 v42, 0xbaee, v50
	;; [unrolled: 1-line block ×4, first 2 shown]
	v_pack_b32_f16 v34, v60, v34
	v_pack_b32_f16 v13, v15, v13
	ds_store_b32 v1, v23 offset:3200
	ds_store_2addr_b32 v1, v10, v16 offset1:75
	v_pack_b32_f16 v10, v11, v27
	v_pack_b32_f16 v11, v28, v35
	;; [unrolled: 1-line block ×4, first 2 shown]
	ds_store_2addr_b32 v1, v17, v12 offset0:150 offset1:225
	v_pack_b32_f16 v12, v36, v37
	v_pack_b32_f16 v14, v38, v39
	;; [unrolled: 1-line block ×4, first 2 shown]
	ds_store_2addr_b32 v32, v13, v34 offset0:44 offset1:144
	ds_store_2addr_b32 v54, v10, v11 offset0:91 offset1:166
	;; [unrolled: 1-line block ×5, first 2 shown]
	s_and_saveexec_b32 s1, s0
	s_cbranch_execz .LBB0_26
; %bb.25:
	v_mov_b32_e32 v4, 0x177
	s_delay_alu instid0(VALU_DEP_1) | instskip(NEXT) | instid1(VALU_DEP_1)
	v_cndmask_b32_e64 v4, 0xffffffe7, v4, s0
	v_add_lshl_u32 v8, v0, v4, 1
	s_delay_alu instid0(VALU_DEP_1) | instskip(NEXT) | instid1(VALU_DEP_1)
	v_lshlrev_b64_e32 v[4:5], 2, v[8:9]
	v_add_co_u32 v4, s0, s4, v4
	s_wait_alu 0xf1ff
	s_delay_alu instid0(VALU_DEP_2) | instskip(SKIP_4) | instid1(VALU_DEP_2)
	v_add_co_ci_u32_e64 v5, s0, s5, v5, s0
	global_load_b64 v[4:5], v[4:5], off offset:1580
	s_wait_loadcnt 0x0
	v_lshrrev_b32_e32 v6, 16, v5
	v_lshrrev_b32_e32 v7, 16, v4
	v_mul_f16_e32 v8, v21, v6
	s_delay_alu instid0(VALU_DEP_2) | instskip(SKIP_2) | instid1(VALU_DEP_4)
	v_mul_f16_e32 v9, v20, v7
	v_mul_f16_e32 v7, v30, v7
	;; [unrolled: 1-line block ×3, first 2 shown]
	v_fma_f16 v8, v31, v5, -v8
	s_delay_alu instid0(VALU_DEP_4) | instskip(NEXT) | instid1(VALU_DEP_4)
	v_fma_f16 v9, v30, v4, -v9
	v_fmac_f16_e32 v7, v20, v4
	s_delay_alu instid0(VALU_DEP_4) | instskip(NEXT) | instid1(VALU_DEP_3)
	v_fmac_f16_e32 v6, v21, v5
	v_add_f16_e32 v4, v9, v8
	v_add_f16_e32 v5, v33, v9
	s_delay_alu instid0(VALU_DEP_3)
	v_add_f16_e32 v10, v7, v6
	v_add_f16_e32 v11, v25, v7
	v_sub_f16_e32 v7, v7, v6
	v_fmac_f16_e32 v33, -0.5, v4
	v_sub_f16_e32 v4, v9, v8
	v_fmac_f16_e32 v25, -0.5, v10
	v_add_f16_e32 v5, v5, v8
	v_add_f16_e32 v6, v11, v6
	v_fmamk_f16 v8, v7, 0xbaee, v33
	v_fmac_f16_e32 v33, 0x3aee, v7
	v_fmamk_f16 v7, v4, 0x3aee, v25
	v_fmac_f16_e32 v25, 0xbaee, v4
	v_pack_b32_f16 v4, v6, v5
	s_delay_alu instid0(VALU_DEP_3) | instskip(NEXT) | instid1(VALU_DEP_3)
	v_pack_b32_f16 v6, v7, v8
	v_pack_b32_f16 v5, v25, v33
	ds_store_b32 v1, v4 offset:1500
	ds_store_b32 v1, v5 offset:3100
	;; [unrolled: 1-line block ×3, first 2 shown]
.LBB0_26:
	s_wait_alu 0xfffe
	s_or_b32 exec_lo, exec_lo, s1
	global_wb scope:SCOPE_SE
	s_wait_dscnt 0x0
	s_barrier_signal -1
	s_barrier_wait -1
	global_inv scope:SCOPE_SE
	s_and_saveexec_b32 s0, vcc_lo
	s_cbranch_execz .LBB0_28
; %bb.27:
	v_dual_mov_b32 v1, 0 :: v_dual_add_nc_u32 v4, 0x4b, v0
	v_add_co_u32 v31, vcc_lo, s8, v2
	s_wait_alu 0xfffd
	v_add_co_ci_u32_e32 v32, vcc_lo, s9, v3, vcc_lo
	s_delay_alu instid0(VALU_DEP_3) | instskip(SKIP_3) | instid1(VALU_DEP_4)
	v_dual_mov_b32 v5, v1 :: v_dual_add_nc_u32 v8, 0x96, v0
	v_lshlrev_b64_e32 v[2:3], 2, v[0:1]
	v_dual_mov_b32 v9, v1 :: v_dual_add_nc_u32 v10, 0xe1, v0
	v_lshl_add_u32 v30, v0, 2, v22
	v_lshlrev_b64_e32 v[4:5], 2, v[4:5]
	v_dual_mov_b32 v11, v1 :: v_dual_add_nc_u32 v14, 0x12c, v0
	v_add_co_u32 v2, vcc_lo, v31, v2
	v_lshlrev_b64_e32 v[8:9], 2, v[8:9]
	v_dual_mov_b32 v15, v1 :: v_dual_add_nc_u32 v16, 0x400, v30
	s_wait_alu 0xfffd
	v_add_co_ci_u32_e32 v3, vcc_lo, v32, v3, vcc_lo
	ds_load_2addr_b32 v[6:7], v30 offset1:75
	v_add_co_u32 v4, vcc_lo, v31, v4
	v_lshlrev_b64_e32 v[10:11], 2, v[10:11]
	v_dual_mov_b32 v19, v1 :: v_dual_add_nc_u32 v18, 0x177, v0
	v_dual_mov_b32 v23, v1 :: v_dual_add_nc_u32 v24, 0x600, v30
	s_wait_alu 0xfffd
	v_add_co_ci_u32_e32 v5, vcc_lo, v32, v5, vcc_lo
	ds_load_2addr_b32 v[12:13], v30 offset0:150 offset1:225
	v_add_co_u32 v8, vcc_lo, v31, v8
	v_lshlrev_b64_e32 v[14:15], 2, v[14:15]
	ds_load_2addr_b32 v[16:17], v16 offset0:44 offset1:119
	v_dual_mov_b32 v21, v1 :: v_dual_add_nc_u32 v20, 0x1c2, v0
	s_wait_alu 0xfffd
	v_add_co_ci_u32_e32 v9, vcc_lo, v32, v9, vcc_lo
	v_add_co_u32 v10, vcc_lo, v31, v10
	v_lshlrev_b64_e32 v[18:19], 2, v[18:19]
	ds_load_2addr_b32 v[24:25], v24 offset0:66 offset1:141
	v_dual_mov_b32 v27, v1 :: v_dual_add_nc_u32 v22, 0x20d, v0
	s_wait_alu 0xfffd
	v_add_co_ci_u32_e32 v11, vcc_lo, v32, v11, vcc_lo
	v_add_co_u32 v14, vcc_lo, v31, v14
	v_lshlrev_b64_e32 v[20:21], 2, v[20:21]
	s_wait_alu 0xfffd
	v_add_co_ci_u32_e32 v15, vcc_lo, v32, v15, vcc_lo
	v_add_co_u32 v18, vcc_lo, v31, v18
	v_lshlrev_b64_e32 v[22:23], 2, v[22:23]
	s_wait_alu 0xfffd
	v_add_co_ci_u32_e32 v19, vcc_lo, v32, v19, vcc_lo
	v_add_co_u32 v20, vcc_lo, v31, v20
	v_dual_mov_b32 v29, v1 :: v_dual_add_nc_u32 v26, 0x258, v0
	s_wait_alu 0xfffd
	v_add_co_ci_u32_e32 v21, vcc_lo, v32, v21, vcc_lo
	v_add_co_u32 v22, vcc_lo, v31, v22
	v_add_nc_u32_e32 v28, 0x2a3, v0
	s_wait_alu 0xfffd
	v_add_co_ci_u32_e32 v23, vcc_lo, v32, v23, vcc_lo
	s_wait_dscnt 0x3
	s_clause 0x1
	global_store_b32 v[2:3], v6, off
	global_store_b32 v[4:5], v7, off
	s_wait_dscnt 0x2
	s_clause 0x1
	global_store_b32 v[8:9], v12, off
	global_store_b32 v[10:11], v13, off
	;; [unrolled: 4-line block ×4, first 2 shown]
	v_mov_b32_e32 v9, v1
	v_lshlrev_b64_e32 v[2:3], 2, v[26:27]
	v_dual_mov_b32 v13, v1 :: v_dual_add_nc_u32 v8, 0x2ee, v0
	v_lshlrev_b64_e32 v[6:7], 2, v[28:29]
	v_add_nc_u32_e32 v33, 0x800, v30
	v_dual_mov_b32 v17, v1 :: v_dual_add_nc_u32 v12, 0x339, v0
	v_add_co_u32 v2, vcc_lo, v31, v2
	v_dual_mov_b32 v15, v1 :: v_dual_add_nc_u32 v10, 0xa00, v30
	v_lshlrev_b64_e32 v[8:9], 2, v[8:9]
	v_dual_mov_b32 v21, v1 :: v_dual_add_nc_u32 v14, 0x384, v0
	s_wait_alu 0xfffd
	v_add_co_ci_u32_e32 v3, vcc_lo, v32, v3, vcc_lo
	v_add_nc_u32_e32 v18, 0xc00, v30
	ds_load_2addr_b32 v[4:5], v33 offset0:88 offset1:163
	v_add_co_u32 v6, vcc_lo, v31, v6
	v_lshlrev_b64_e32 v[12:13], 2, v[12:13]
	v_add_nc_u32_e32 v16, 0x3cf, v0
	v_add_nc_u32_e32 v22, 0x1000, v30
	s_wait_alu 0xfffd
	v_add_co_ci_u32_e32 v7, vcc_lo, v32, v7, vcc_lo
	ds_load_2addr_b32 v[10:11], v10 offset0:110 offset1:185
	v_add_co_u32 v8, vcc_lo, v31, v8
	v_lshlrev_b64_e32 v[14:15], 2, v[14:15]
	ds_load_2addr_b32 v[18:19], v18 offset0:132 offset1:207
	v_add_nc_u32_e32 v20, 0x41a, v0
	s_wait_alu 0xfffd
	v_add_co_ci_u32_e32 v9, vcc_lo, v32, v9, vcc_lo
	v_add_co_u32 v12, vcc_lo, v31, v12
	v_lshlrev_b64_e32 v[16:17], 2, v[16:17]
	ds_load_2addr_b32 v[22:23], v22 offset0:26 offset1:101
	v_add_nc_u32_e32 v0, 0x465, v0
	s_wait_alu 0xfffd
	v_add_co_ci_u32_e32 v13, vcc_lo, v32, v13, vcc_lo
	v_add_co_u32 v14, vcc_lo, v31, v14
	v_lshlrev_b64_e32 v[20:21], 2, v[20:21]
	s_wait_alu 0xfffd
	v_add_co_ci_u32_e32 v15, vcc_lo, v32, v15, vcc_lo
	v_add_co_u32 v16, vcc_lo, v31, v16
	v_lshlrev_b64_e32 v[0:1], 2, v[0:1]
	s_wait_alu 0xfffd
	v_add_co_ci_u32_e32 v17, vcc_lo, v32, v17, vcc_lo
	v_add_co_u32 v20, vcc_lo, v31, v20
	s_wait_alu 0xfffd
	v_add_co_ci_u32_e32 v21, vcc_lo, v32, v21, vcc_lo
	v_add_co_u32 v0, vcc_lo, v31, v0
	s_wait_alu 0xfffd
	v_add_co_ci_u32_e32 v1, vcc_lo, v32, v1, vcc_lo
	s_wait_dscnt 0x3
	s_clause 0x1
	global_store_b32 v[2:3], v4, off
	global_store_b32 v[6:7], v5, off
	s_wait_dscnt 0x2
	s_clause 0x1
	global_store_b32 v[8:9], v10, off
	global_store_b32 v[12:13], v11, off
	;; [unrolled: 4-line block ×4, first 2 shown]
.LBB0_28:
	s_nop 0
	s_sendmsg sendmsg(MSG_DEALLOC_VGPRS)
	s_endpgm
	.section	.rodata,"a",@progbits
	.p2align	6, 0x0
	.amdhsa_kernel fft_rtc_back_len1200_factors_5_5_16_3_wgs_225_tpt_75_halfLds_half_ip_CI_unitstride_sbrr_C2R_dirReg
		.amdhsa_group_segment_fixed_size 0
		.amdhsa_private_segment_fixed_size 0
		.amdhsa_kernarg_size 88
		.amdhsa_user_sgpr_count 2
		.amdhsa_user_sgpr_dispatch_ptr 0
		.amdhsa_user_sgpr_queue_ptr 0
		.amdhsa_user_sgpr_kernarg_segment_ptr 1
		.amdhsa_user_sgpr_dispatch_id 0
		.amdhsa_user_sgpr_private_segment_size 0
		.amdhsa_wavefront_size32 1
		.amdhsa_uses_dynamic_stack 0
		.amdhsa_enable_private_segment 0
		.amdhsa_system_sgpr_workgroup_id_x 1
		.amdhsa_system_sgpr_workgroup_id_y 0
		.amdhsa_system_sgpr_workgroup_id_z 0
		.amdhsa_system_sgpr_workgroup_info 0
		.amdhsa_system_vgpr_workitem_id 0
		.amdhsa_next_free_vgpr 113
		.amdhsa_next_free_sgpr 32
		.amdhsa_reserve_vcc 1
		.amdhsa_float_round_mode_32 0
		.amdhsa_float_round_mode_16_64 0
		.amdhsa_float_denorm_mode_32 3
		.amdhsa_float_denorm_mode_16_64 3
		.amdhsa_fp16_overflow 0
		.amdhsa_workgroup_processor_mode 1
		.amdhsa_memory_ordered 1
		.amdhsa_forward_progress 0
		.amdhsa_round_robin_scheduling 0
		.amdhsa_exception_fp_ieee_invalid_op 0
		.amdhsa_exception_fp_denorm_src 0
		.amdhsa_exception_fp_ieee_div_zero 0
		.amdhsa_exception_fp_ieee_overflow 0
		.amdhsa_exception_fp_ieee_underflow 0
		.amdhsa_exception_fp_ieee_inexact 0
		.amdhsa_exception_int_div_zero 0
	.end_amdhsa_kernel
	.text
.Lfunc_end0:
	.size	fft_rtc_back_len1200_factors_5_5_16_3_wgs_225_tpt_75_halfLds_half_ip_CI_unitstride_sbrr_C2R_dirReg, .Lfunc_end0-fft_rtc_back_len1200_factors_5_5_16_3_wgs_225_tpt_75_halfLds_half_ip_CI_unitstride_sbrr_C2R_dirReg
                                        ; -- End function
	.section	.AMDGPU.csdata,"",@progbits
; Kernel info:
; codeLenInByte = 12568
; NumSgprs: 34
; NumVgprs: 113
; ScratchSize: 0
; MemoryBound: 0
; FloatMode: 240
; IeeeMode: 1
; LDSByteSize: 0 bytes/workgroup (compile time only)
; SGPRBlocks: 4
; VGPRBlocks: 14
; NumSGPRsForWavesPerEU: 34
; NumVGPRsForWavesPerEU: 113
; Occupancy: 12
; WaveLimiterHint : 1
; COMPUTE_PGM_RSRC2:SCRATCH_EN: 0
; COMPUTE_PGM_RSRC2:USER_SGPR: 2
; COMPUTE_PGM_RSRC2:TRAP_HANDLER: 0
; COMPUTE_PGM_RSRC2:TGID_X_EN: 1
; COMPUTE_PGM_RSRC2:TGID_Y_EN: 0
; COMPUTE_PGM_RSRC2:TGID_Z_EN: 0
; COMPUTE_PGM_RSRC2:TIDIG_COMP_CNT: 0
	.text
	.p2alignl 7, 3214868480
	.fill 96, 4, 3214868480
	.type	__hip_cuid_fd1b8a6118f5babd,@object ; @__hip_cuid_fd1b8a6118f5babd
	.section	.bss,"aw",@nobits
	.globl	__hip_cuid_fd1b8a6118f5babd
__hip_cuid_fd1b8a6118f5babd:
	.byte	0                               ; 0x0
	.size	__hip_cuid_fd1b8a6118f5babd, 1

	.ident	"AMD clang version 19.0.0git (https://github.com/RadeonOpenCompute/llvm-project roc-6.4.0 25133 c7fe45cf4b819c5991fe208aaa96edf142730f1d)"
	.section	".note.GNU-stack","",@progbits
	.addrsig
	.addrsig_sym __hip_cuid_fd1b8a6118f5babd
	.amdgpu_metadata
---
amdhsa.kernels:
  - .args:
      - .actual_access:  read_only
        .address_space:  global
        .offset:         0
        .size:           8
        .value_kind:     global_buffer
      - .offset:         8
        .size:           8
        .value_kind:     by_value
      - .actual_access:  read_only
        .address_space:  global
        .offset:         16
        .size:           8
        .value_kind:     global_buffer
      - .actual_access:  read_only
        .address_space:  global
        .offset:         24
        .size:           8
        .value_kind:     global_buffer
      - .offset:         32
        .size:           8
        .value_kind:     by_value
      - .actual_access:  read_only
        .address_space:  global
        .offset:         40
        .size:           8
        .value_kind:     global_buffer
      - .actual_access:  read_only
        .address_space:  global
        .offset:         48
        .size:           8
        .value_kind:     global_buffer
      - .offset:         56
        .size:           4
        .value_kind:     by_value
      - .actual_access:  read_only
        .address_space:  global
        .offset:         64
        .size:           8
        .value_kind:     global_buffer
      - .actual_access:  read_only
        .address_space:  global
        .offset:         72
        .size:           8
        .value_kind:     global_buffer
      - .address_space:  global
        .offset:         80
        .size:           8
        .value_kind:     global_buffer
    .group_segment_fixed_size: 0
    .kernarg_segment_align: 8
    .kernarg_segment_size: 88
    .language:       OpenCL C
    .language_version:
      - 2
      - 0
    .max_flat_workgroup_size: 225
    .name:           fft_rtc_back_len1200_factors_5_5_16_3_wgs_225_tpt_75_halfLds_half_ip_CI_unitstride_sbrr_C2R_dirReg
    .private_segment_fixed_size: 0
    .sgpr_count:     34
    .sgpr_spill_count: 0
    .symbol:         fft_rtc_back_len1200_factors_5_5_16_3_wgs_225_tpt_75_halfLds_half_ip_CI_unitstride_sbrr_C2R_dirReg.kd
    .uniform_work_group_size: 1
    .uses_dynamic_stack: false
    .vgpr_count:     113
    .vgpr_spill_count: 0
    .wavefront_size: 32
    .workgroup_processor_mode: 1
amdhsa.target:   amdgcn-amd-amdhsa--gfx1201
amdhsa.version:
  - 1
  - 2
...

	.end_amdgpu_metadata
